;; amdgpu-corpus repo=ROCm/rocFFT kind=compiled arch=gfx1201 opt=O3
	.text
	.amdgcn_target "amdgcn-amd-amdhsa--gfx1201"
	.amdhsa_code_object_version 6
	.protected	bluestein_single_back_len2401_dim1_dp_op_CI_CI ; -- Begin function bluestein_single_back_len2401_dim1_dp_op_CI_CI
	.globl	bluestein_single_back_len2401_dim1_dp_op_CI_CI
	.p2align	8
	.type	bluestein_single_back_len2401_dim1_dp_op_CI_CI,@function
bluestein_single_back_len2401_dim1_dp_op_CI_CI: ; @bluestein_single_back_len2401_dim1_dp_op_CI_CI
; %bb.0:
	s_load_b128 s[12:15], s[0:1], 0x28
	v_mul_u32_u24_e32 v1, 0x53a, v0
	s_mov_b32 s2, exec_lo
	v_mov_b32_e32 v2, 0
	s_delay_alu instid0(VALU_DEP_2) | instskip(NEXT) | instid1(VALU_DEP_1)
	v_lshrrev_b32_e32 v3, 16, v1
	v_add_nc_u32_e32 v1, ttmp9, v3
	s_wait_kmcnt 0x0
	s_delay_alu instid0(VALU_DEP_1)
	v_cmpx_gt_u64_e64 s[12:13], v[1:2]
	s_cbranch_execz .LBB0_2
; %bb.1:
	s_clause 0x2
	s_load_b128 s[4:7], s[0:1], 0x0
	s_load_b128 s[16:19], s[0:1], 0x18
	s_load_b64 s[12:13], s[0:1], 0x38
	v_mul_lo_u16 v2, v3, 49
	s_mov_b32 s30, 0x37e14327
	s_mov_b32 s31, 0x3fe948f6
	;; [unrolled: 1-line block ×4, first 2 shown]
	v_sub_nc_u16 v202, v0, v2
	s_mov_b32 s24, 0xaaaaaaaa
	s_mov_b32 s25, 0xbff2aaaa
	;; [unrolled: 1-line block ×5, first 2 shown]
	s_wait_kmcnt 0x0
	s_load_b128 s[8:11], s[16:17], 0x0
	s_load_b128 s[0:3], s[18:19], 0x0
	s_mov_b32 s18, 0x5476071b
	s_mov_b32 s19, 0x3fe77f67
	;; [unrolled: 1-line block ×6, first 2 shown]
	s_add_nc_u64 s[34:35], s[4:5], 0x9610
	s_wait_kmcnt 0x0
	v_mad_co_u64_u32 v[4:5], null, s2, v1, 0
	s_delay_alu instid0(VALU_DEP_1) | instskip(NEXT) | instid1(VALU_DEP_1)
	v_mov_b32_e32 v0, v5
	v_mad_co_u64_u32 v[2:3], null, s3, v1, v[0:1]
	v_and_b32_e32 v6, 0xffff, v202
	s_movk_i32 s2, 0x8270
	s_mov_b32 s3, -1
	s_delay_alu instid0(VALU_DEP_2)
	v_mov_b32_e32 v5, v2
	v_mad_co_u64_u32 v[2:3], null, s10, v1, 0
	v_mov_b32_e32 v14, v6
	v_lshlrev_b32_e32 v196, 4, v6
	scratch_store_b64 off, v[4:5], off offset:20 ; 8-byte Folded Spill
	v_add_co_u32 v215, null, v14, 49
	v_mov_b32_e32 v0, v3
	v_add_co_u32 v216, null, 0x62, v14
	v_add_co_u32 v219, null, 0x93, v14
	s_delay_alu instid0(VALU_DEP_3) | instskip(SKIP_4) | instid1(VALU_DEP_4)
	v_mad_co_u64_u32 v[0:1], null, s11, v1, v[0:1]
	s_mul_u64 s[10:11], s[8:9], 0x1570
	v_add_co_u32 v220, null, 0xc4, v14
	v_add_co_u32 v218, null, 0xf5, v14
	;; [unrolled: 1-line block ×3, first 2 shown]
	v_mov_b32_e32 v3, v0
	v_mad_co_u64_u32 v[0:1], null, s8, v6, 0
	global_load_b128 v[10:13], v196, s[4:5]
	v_mad_co_u64_u32 v[4:5], null, s9, v6, v[1:2]
	v_lshlrev_b64_e32 v[2:3], 4, v[2:3]
	s_wait_alu 0xfffe
	s_mul_u64 s[8:9], s[8:9], s[2:3]
	s_delay_alu instid0(VALU_DEP_2) | instskip(NEXT) | instid1(VALU_DEP_2)
	v_mov_b32_e32 v1, v4
	v_add_co_u32 v2, vcc_lo, s14, v2
	s_delay_alu instid0(VALU_DEP_3) | instskip(NEXT) | instid1(VALU_DEP_3)
	v_add_co_ci_u32_e32 v3, vcc_lo, s15, v3, vcc_lo
	v_lshlrev_b64_e32 v[0:1], 4, v[0:1]
	s_mov_b32 s14, 0x36b3c0b5
	s_mov_b32 s15, 0x3fac98ee
	s_delay_alu instid0(VALU_DEP_1) | instskip(SKIP_1) | instid1(VALU_DEP_2)
	v_add_co_u32 v8, vcc_lo, v2, v0
	s_wait_alu 0xfffd
	v_add_co_ci_u32_e32 v9, vcc_lo, v3, v1, vcc_lo
	global_load_b128 v[0:3], v[8:9], off
	v_add_co_u32 v8, vcc_lo, v8, s10
	s_wait_alu 0xfffd
	v_add_co_ci_u32_e32 v9, vcc_lo, s11, v9, vcc_lo
	s_wait_loadcnt 0x1
	scratch_store_b128 off, v[10:13], off offset:44 ; 16-byte Folded Spill
	s_wait_loadcnt 0x0
	v_mul_f64_e32 v[4:5], v[2:3], v[12:13]
	s_delay_alu instid0(VALU_DEP_1) | instskip(SKIP_1) | instid1(VALU_DEP_1)
	v_fma_f64 v[4:5], v[0:1], v[10:11], v[4:5]
	v_mul_f64_e32 v[0:1], v[0:1], v[12:13]
	v_fma_f64 v[6:7], v[2:3], v[10:11], -v[0:1]
	ds_store_b128 v196, v[4:7]
	global_load_b128 v[0:3], v[8:9], off
	global_load_b128 v[10:13], v196, s[4:5] offset:5488
	v_add_co_u32 v8, vcc_lo, v8, s10
	s_wait_alu 0xfffd
	v_add_co_ci_u32_e32 v9, vcc_lo, s11, v9, vcc_lo
	s_wait_loadcnt 0x0
	v_mul_f64_e32 v[4:5], v[2:3], v[12:13]
	scratch_store_b128 off, v[10:13], off offset:28 ; 16-byte Folded Spill
	v_fma_f64 v[4:5], v[0:1], v[10:11], v[4:5]
	v_mul_f64_e32 v[0:1], v[0:1], v[12:13]
	s_delay_alu instid0(VALU_DEP_1)
	v_fma_f64 v[6:7], v[2:3], v[10:11], -v[0:1]
	ds_store_b128 v196, v[4:7] offset:5488
	global_load_b128 v[0:3], v[8:9], off
	global_load_b128 v[10:13], v196, s[4:5] offset:10976
	v_add_co_u32 v8, vcc_lo, v8, s10
	s_wait_alu 0xfffd
	v_add_co_ci_u32_e32 v9, vcc_lo, s11, v9, vcc_lo
	s_wait_loadcnt 0x0
	v_mul_f64_e32 v[4:5], v[2:3], v[12:13]
	scratch_store_b128 off, v[10:13], off offset:60 ; 16-byte Folded Spill
	v_fma_f64 v[4:5], v[0:1], v[10:11], v[4:5]
	v_mul_f64_e32 v[0:1], v[0:1], v[12:13]
	s_delay_alu instid0(VALU_DEP_1)
	v_fma_f64 v[6:7], v[2:3], v[10:11], -v[0:1]
	ds_store_b128 v196, v[4:7] offset:10976
	;; [unrolled: 13-line block ×5, first 2 shown]
	global_load_b128 v[0:3], v[8:9], off
	global_load_b128 v[10:13], v196, s[4:5] offset:32928
	s_wait_alu 0xfffe
	v_add_co_u32 v8, vcc_lo, v8, s8
	s_wait_alu 0xfffd
	v_add_co_ci_u32_e32 v9, vcc_lo, s9, v9, vcc_lo
	s_wait_loadcnt 0x0
	v_mul_f64_e32 v[4:5], v[2:3], v[12:13]
	scratch_store_b128 off, v[10:13], off offset:92 ; 16-byte Folded Spill
	v_fma_f64 v[4:5], v[0:1], v[10:11], v[4:5]
	v_mul_f64_e32 v[0:1], v[0:1], v[12:13]
	s_delay_alu instid0(VALU_DEP_1)
	v_fma_f64 v[6:7], v[2:3], v[10:11], -v[0:1]
	ds_store_b128 v196, v[4:7] offset:32928
	global_load_b128 v[0:3], v[8:9], off
	global_load_b128 v[10:13], v196, s[4:5] offset:784
	v_add_co_u32 v8, vcc_lo, v8, s10
	s_wait_alu 0xfffd
	v_add_co_ci_u32_e32 v9, vcc_lo, s11, v9, vcc_lo
	s_wait_loadcnt 0x0
	v_mul_f64_e32 v[4:5], v[2:3], v[12:13]
	scratch_store_b128 off, v[10:13], off offset:140 ; 16-byte Folded Spill
	v_fma_f64 v[4:5], v[0:1], v[10:11], v[4:5]
	v_mul_f64_e32 v[0:1], v[0:1], v[12:13]
	s_delay_alu instid0(VALU_DEP_1)
	v_fma_f64 v[6:7], v[2:3], v[10:11], -v[0:1]
	ds_store_b128 v196, v[4:7] offset:784
	global_load_b128 v[0:3], v[8:9], off
	global_load_b128 v[10:13], v196, s[4:5] offset:6272
	;; [unrolled: 13-line block ×28, first 2 shown]
	v_add_co_u32 v8, vcc_lo, v8, s8
	s_wait_alu 0xfffd
	v_add_co_ci_u32_e32 v9, vcc_lo, s9, v9, vcc_lo
	scratch_store_b32 off, v14, off         ; 4-byte Folded Spill
	s_wait_loadcnt 0x0
	v_mul_f64_e32 v[4:5], v[2:3], v[12:13]
	scratch_store_b128 off, v[10:13], off offset:492 ; 16-byte Folded Spill
	v_fma_f64 v[4:5], v[0:1], v[10:11], v[4:5]
	v_mul_f64_e32 v[0:1], v[0:1], v[12:13]
	s_delay_alu instid0(VALU_DEP_1)
	v_fma_f64 v[6:7], v[2:3], v[10:11], -v[0:1]
	ds_store_b128 v196, v[4:7] offset:36064
	global_load_b128 v[0:3], v[8:9], off
	global_load_b128 v[10:13], v196, s[4:5] offset:3920
	v_add_co_u32 v8, vcc_lo, v8, s10
	s_wait_alu 0xfffd
	v_add_co_ci_u32_e32 v9, vcc_lo, s11, v9, vcc_lo
	s_wait_loadcnt 0x0
	v_mul_f64_e32 v[4:5], v[2:3], v[12:13]
	scratch_store_b128 off, v[10:13], off offset:508 ; 16-byte Folded Spill
	v_fma_f64 v[4:5], v[0:1], v[10:11], v[4:5]
	v_mul_f64_e32 v[0:1], v[0:1], v[12:13]
	s_delay_alu instid0(VALU_DEP_1)
	v_fma_f64 v[6:7], v[2:3], v[10:11], -v[0:1]
	ds_store_b128 v196, v[4:7] offset:3920
	global_load_b128 v[0:3], v[8:9], off
	global_load_b128 v[10:13], v196, s[4:5] offset:9408
	v_add_co_u32 v8, vcc_lo, v8, s10
	s_wait_alu 0xfffd
	v_add_co_ci_u32_e32 v9, vcc_lo, s11, v9, vcc_lo
	;; [unrolled: 13-line block ×6, first 2 shown]
	s_wait_loadcnt 0x0
	v_mul_f64_e32 v[4:5], v[2:3], v[12:13]
	scratch_store_b128 off, v[10:13], off offset:412 ; 16-byte Folded Spill
	v_fma_f64 v[4:5], v[0:1], v[10:11], v[4:5]
	v_mul_f64_e32 v[0:1], v[0:1], v[12:13]
	s_delay_alu instid0(VALU_DEP_1)
	v_fma_f64 v[6:7], v[2:3], v[10:11], -v[0:1]
	ds_store_b128 v196, v[4:7] offset:31360
	global_load_b128 v[0:3], v[8:9], off
	global_load_b128 v[10:13], v196, s[4:5] offset:36848
	s_wait_loadcnt 0x0
	v_mul_f64_e32 v[4:5], v[2:3], v[12:13]
	scratch_store_b128 off, v[10:13], off offset:396 ; 16-byte Folded Spill
	v_fma_f64 v[4:5], v[0:1], v[10:11], v[4:5]
	v_mul_f64_e32 v[0:1], v[0:1], v[12:13]
	s_delay_alu instid0(VALU_DEP_1)
	v_fma_f64 v[6:7], v[2:3], v[10:11], -v[0:1]
	ds_store_b128 v196, v[4:7] offset:36848
	v_add_co_u32 v4, vcc_lo, v8, s8
	s_wait_alu 0xfffd
	v_add_co_ci_u32_e32 v5, vcc_lo, s9, v9, vcc_lo
	global_load_b128 v[0:3], v[4:5], off
	global_load_b128 v[8:11], v196, s[4:5] offset:4704
	s_mov_b32 s9, 0x3fdc38aa
	s_mov_b32 s8, 0x37c3f68c
	s_wait_loadcnt 0x0
	v_mul_f64_e32 v[6:7], v[2:3], v[10:11]
	scratch_store_b128 off, v[8:11], off offset:716 ; 16-byte Folded Spill
	v_fma_f64 v[6:7], v[0:1], v[8:9], v[6:7]
	v_mul_f64_e32 v[0:1], v[0:1], v[10:11]
	s_delay_alu instid0(VALU_DEP_1)
	v_fma_f64 v[8:9], v[2:3], v[8:9], -v[0:1]
	ds_store_b128 v196, v[6:9] offset:4704
	v_add_co_u32 v8, vcc_lo, v4, s10
	s_wait_alu 0xfffd
	v_add_co_ci_u32_e32 v9, vcc_lo, s11, v5, vcc_lo
	global_load_b128 v[0:3], v[8:9], off
	global_load_b128 v[10:13], v196, s[4:5] offset:10192
	v_add_co_u32 v8, vcc_lo, v8, s10
	s_wait_alu 0xfffd
	v_add_co_ci_u32_e32 v9, vcc_lo, s11, v9, vcc_lo
	s_wait_loadcnt 0x0
	v_mul_f64_e32 v[4:5], v[2:3], v[12:13]
	scratch_store_b128 off, v[10:13], off offset:700 ; 16-byte Folded Spill
	v_fma_f64 v[4:5], v[0:1], v[10:11], v[4:5]
	v_mul_f64_e32 v[0:1], v[0:1], v[12:13]
	s_delay_alu instid0(VALU_DEP_1)
	v_fma_f64 v[6:7], v[2:3], v[10:11], -v[0:1]
	ds_store_b128 v196, v[4:7] offset:10192
	global_load_b128 v[0:3], v[8:9], off
	global_load_b128 v[10:13], v196, s[4:5] offset:15680
	v_add_co_u32 v8, vcc_lo, v8, s10
	s_wait_alu 0xfffd
	v_add_co_ci_u32_e32 v9, vcc_lo, s11, v9, vcc_lo
	s_wait_loadcnt 0x0
	v_mul_f64_e32 v[4:5], v[2:3], v[12:13]
	scratch_store_b128 off, v[10:13], off offset:748 ; 16-byte Folded Spill
	v_fma_f64 v[4:5], v[0:1], v[10:11], v[4:5]
	v_mul_f64_e32 v[0:1], v[0:1], v[12:13]
	s_delay_alu instid0(VALU_DEP_1)
	v_fma_f64 v[6:7], v[2:3], v[10:11], -v[0:1]
	ds_store_b128 v196, v[4:7] offset:15680
	;; [unrolled: 13-line block ×3, first 2 shown]
	global_load_b128 v[0:3], v[8:9], off
	global_load_b128 v[10:13], v196, s[4:5] offset:26656
	s_wait_loadcnt 0x0
	v_mul_f64_e32 v[4:5], v[2:3], v[12:13]
	scratch_store_b128 off, v[10:13], off offset:764 ; 16-byte Folded Spill
	v_fma_f64 v[4:5], v[0:1], v[10:11], v[4:5]
	v_mul_f64_e32 v[0:1], v[0:1], v[12:13]
	s_delay_alu instid0(VALU_DEP_1)
	v_fma_f64 v[6:7], v[2:3], v[10:11], -v[0:1]
	ds_store_b128 v196, v[4:7] offset:26656
	v_add_co_u32 v4, vcc_lo, v8, s10
	s_wait_alu 0xfffd
	v_add_co_ci_u32_e32 v5, vcc_lo, s11, v9, vcc_lo
	global_load_b128 v[0:3], v[4:5], off
	global_load_b128 v[10:13], v196, s[4:5] offset:32144
	s_wait_loadcnt 0x0
	v_mul_f64_e32 v[6:7], v[2:3], v[12:13]
	scratch_store_b128 off, v[10:13], off offset:780 ; 16-byte Folded Spill
	v_fma_f64 v[6:7], v[0:1], v[10:11], v[6:7]
	v_mul_f64_e32 v[0:1], v[0:1], v[12:13]
	s_delay_alu instid0(VALU_DEP_1)
	v_fma_f64 v[8:9], v[2:3], v[10:11], -v[0:1]
	v_add_co_u32 v0, vcc_lo, v4, s10
	s_wait_alu 0xfffd
	v_add_co_ci_u32_e32 v1, vcc_lo, s11, v5, vcc_lo
	s_mov_b32 s10, 0x429ad128
	s_mov_b32 s11, 0xbfebfeb5
	s_wait_alu 0xfffe
	s_mov_b32 s28, s10
	ds_store_b128 v196, v[6:9] offset:32144
	global_load_b128 v[0:3], v[0:1], off
	global_load_b128 v[6:9], v196, s[4:5] offset:37632
	s_wait_loadcnt 0x0
	v_mul_f64_e32 v[4:5], v[2:3], v[8:9]
	scratch_store_b128 off, v[6:9], off offset:4 ; 16-byte Folded Spill
	v_fma_f64 v[4:5], v[0:1], v[6:7], v[4:5]
	v_mul_f64_e32 v[0:1], v[0:1], v[8:9]
	s_delay_alu instid0(VALU_DEP_1)
	v_fma_f64 v[6:7], v[2:3], v[6:7], -v[0:1]
	ds_store_b128 v196, v[4:7] offset:37632
	global_wb scope:SCOPE_SE
	s_wait_storecnt_dscnt 0x0
	s_barrier_signal -1
	s_barrier_wait -1
	global_inv scope:SCOPE_SE
	ds_load_b128 v[4:7], v196
	ds_load_b128 v[24:27], v196 offset:5488
	ds_load_b128 v[16:19], v196 offset:10976
	ds_load_b128 v[8:11], v196 offset:16464
	ds_load_b128 v[12:15], v196 offset:21952
	ds_load_b128 v[20:23], v196 offset:27440
	ds_load_b128 v[28:31], v196 offset:32928
	ds_load_b128 v[32:35], v196 offset:784
	ds_load_b128 v[52:55], v196 offset:6272
	ds_load_b128 v[44:47], v196 offset:11760
	ds_load_b128 v[36:39], v196 offset:17248
	ds_load_b128 v[40:43], v196 offset:22736
	ds_load_b128 v[48:51], v196 offset:28224
	ds_load_b128 v[56:59], v196 offset:33712
	ds_load_b128 v[60:63], v196 offset:1568
	ds_load_b128 v[80:83], v196 offset:7056
	ds_load_b128 v[72:75], v196 offset:12544
	ds_load_b128 v[64:67], v196 offset:18032
	ds_load_b128 v[68:71], v196 offset:23520
	ds_load_b128 v[76:79], v196 offset:29008
	ds_load_b128 v[84:87], v196 offset:34496
	ds_load_b128 v[88:91], v196 offset:2352
	ds_load_b128 v[108:111], v196 offset:7840
	ds_load_b128 v[100:103], v196 offset:13328
	ds_load_b128 v[92:95], v196 offset:18816
	ds_load_b128 v[96:99], v196 offset:24304
	ds_load_b128 v[104:107], v196 offset:29792
	ds_load_b128 v[112:115], v196 offset:35280
	ds_load_b128 v[140:143], v196 offset:3136
	ds_load_b128 v[160:163], v196 offset:8624
	ds_load_b128 v[152:155], v196 offset:14112
	ds_load_b128 v[144:147], v196 offset:19600
	ds_load_b128 v[148:151], v196 offset:25088
	ds_load_b128 v[156:159], v196 offset:30576
	ds_load_b128 v[164:167], v196 offset:36064
	ds_load_b128 v[168:171], v196 offset:3920
	ds_load_b128 v[188:191], v196 offset:9408
	ds_load_b128 v[180:183], v196 offset:14896
	ds_load_b128 v[172:175], v196 offset:20384
	ds_load_b128 v[176:179], v196 offset:25872
	ds_load_b128 v[184:187], v196 offset:31360
	ds_load_b128 v[192:195], v196 offset:36848
	ds_load_b128 v[0:3], v196 offset:4704
	ds_load_b128 v[132:135], v196 offset:10192
	ds_load_b128 v[124:127], v196 offset:15680
	ds_load_b128 v[116:119], v196 offset:21168
	ds_load_b128 v[120:123], v196 offset:26656
	ds_load_b128 v[128:131], v196 offset:32144
	ds_load_b128 v[136:139], v196 offset:37632
	s_wait_dscnt 0x2a
	v_add_f64_e32 v[199:200], v[26:27], v[30:31]
	v_add_f64_e64 v[26:27], v[26:27], -v[30:31]
	v_add_f64_e32 v[30:31], v[18:19], v[22:23]
	v_add_f64_e32 v[197:198], v[24:25], v[28:29]
	v_add_f64_e64 v[24:25], v[24:25], -v[28:29]
	v_add_f64_e32 v[28:29], v[16:17], v[20:21]
	v_add_f64_e64 v[16:17], v[16:17], -v[20:21]
	v_add_f64_e64 v[18:19], v[18:19], -v[22:23]
	v_add_f64_e32 v[20:21], v[8:9], v[12:13]
	v_add_f64_e32 v[22:23], v[10:11], v[14:15]
	v_add_f64_e64 v[8:9], v[12:13], -v[8:9]
	v_add_f64_e64 v[10:11], v[14:15], -v[10:11]
	global_wb scope:SCOPE_SE
	s_wait_dscnt 0x0
	s_barrier_signal -1
	s_barrier_wait -1
	global_inv scope:SCOPE_SE
	v_add_f64_e32 v[14:15], v[30:31], v[199:200]
	v_add_f64_e64 v[205:206], v[30:31], -v[199:200]
	v_add_f64_e32 v[12:13], v[28:29], v[197:198]
	v_add_f64_e64 v[203:204], v[28:29], -v[197:198]
	v_add_f64_e64 v[197:198], v[197:198], -v[20:21]
	;; [unrolled: 1-line block ×4, first 2 shown]
	v_add_f64_e32 v[207:208], v[8:9], v[16:17]
	v_add_f64_e32 v[209:210], v[10:11], v[18:19]
	v_add_f64_e64 v[211:212], v[8:9], -v[16:17]
	v_add_f64_e64 v[28:29], v[20:21], -v[28:29]
	;; [unrolled: 1-line block ×7, first 2 shown]
	v_add_f64_e32 v[14:15], v[22:23], v[14:15]
	v_add_f64_e32 v[12:13], v[20:21], v[12:13]
	;; [unrolled: 1-line block ×4, first 2 shown]
	v_mul_f64_e32 v[26:27], s[30:31], v[199:200]
	v_mul_f64_e32 v[199:200], s[14:15], v[30:31]
	;; [unrolled: 1-line block ×8, first 2 shown]
	v_add_f64_e32 v[6:7], v[6:7], v[14:15]
	v_add_f64_e32 v[4:5], v[4:5], v[12:13]
	v_fma_f64 v[30:31], v[30:31], s[14:15], v[26:27]
	v_fma_f64 v[199:200], v[205:206], s[18:19], -v[199:200]
	v_fma_f64 v[16:17], v[16:17], s[28:29], -v[207:208]
	v_fma_f64 v[28:29], v[28:29], s[14:15], v[24:25]
	v_fma_f64 v[197:198], v[203:204], s[18:19], -v[197:198]
	v_fma_f64 v[18:19], v[18:19], s[28:29], -v[209:210]
	;; [unrolled: 1-line block ×4, first 2 shown]
	v_fma_f64 v[203:204], v[8:9], s[16:17], v[207:208]
	v_fma_f64 v[205:206], v[10:11], s[16:17], v[209:210]
	v_fma_f64 v[8:9], v[8:9], s[22:23], v[211:212]
	v_fma_f64 v[10:11], v[10:11], s[22:23], v[213:214]
	v_fma_f64 v[14:15], v[14:15], s[24:25], v[6:7]
	v_fma_f64 v[12:13], v[12:13], s[24:25], v[4:5]
	v_fma_f64 v[211:212], v[20:21], s[8:9], v[16:17]
	v_fma_f64 v[16:17], v[22:23], s[8:9], v[18:19]
	v_fma_f64 v[203:204], v[20:21], s[8:9], v[203:204]
	v_fma_f64 v[205:206], v[22:23], s[8:9], v[205:206]
	v_fma_f64 v[8:9], v[20:21], s[8:9], v[8:9]
	v_fma_f64 v[10:11], v[22:23], s[8:9], v[10:11]
	v_add_f64_e32 v[199:200], v[199:200], v[14:15]
	v_add_f64_e32 v[209:210], v[30:31], v[14:15]
	;; [unrolled: 1-line block ×7, first 2 shown]
	v_add_f64_e64 v[18:19], v[199:200], -v[211:212]
	v_add_f64_e32 v[199:200], v[54:55], v[58:59]
	v_add_f64_e64 v[54:55], v[54:55], -v[58:59]
	v_add_f64_e32 v[58:59], v[46:47], v[50:51]
	;; [unrolled: 2-line block ×3, first 2 shown]
	v_add_f64_e32 v[197:198], v[52:53], v[56:57]
	v_add_f64_e64 v[52:53], v[52:53], -v[56:57]
	v_add_f64_e32 v[56:57], v[44:45], v[48:49]
	v_add_f64_e64 v[44:45], v[44:45], -v[48:49]
	v_add_f64_e64 v[46:47], v[46:47], -v[50:51]
	v_add_f64_e32 v[48:49], v[36:37], v[40:41]
	v_add_f64_e32 v[50:51], v[38:39], v[42:43]
	v_add_f64_e64 v[36:37], v[40:41], -v[36:37]
	v_add_f64_e64 v[38:39], v[42:43], -v[38:39]
	v_add_f64_e32 v[28:29], v[207:208], v[205:206]
	v_add_f64_e64 v[30:31], v[209:210], -v[203:204]
	v_add_f64_e32 v[24:25], v[12:13], v[10:11]
	v_add_f64_e64 v[26:27], v[14:15], -v[8:9]
	v_add_f64_e64 v[12:13], v[12:13], -v[10:11]
	v_add_f64_e32 v[14:15], v[8:9], v[14:15]
	v_add_f64_e64 v[8:9], v[207:208], -v[205:206]
	v_add_f64_e32 v[10:11], v[203:204], v[209:210]
	v_add_f64_e32 v[42:43], v[58:59], v[199:200]
	v_add_f64_e64 v[205:206], v[58:59], -v[199:200]
	v_add_f64_e32 v[40:41], v[56:57], v[197:198]
	v_add_f64_e64 v[203:204], v[56:57], -v[197:198]
	v_add_f64_e64 v[197:198], v[197:198], -v[48:49]
	;; [unrolled: 1-line block ×4, first 2 shown]
	v_add_f64_e32 v[207:208], v[36:37], v[44:45]
	v_add_f64_e32 v[209:210], v[38:39], v[46:47]
	v_add_f64_e64 v[211:212], v[36:37], -v[44:45]
	v_add_f64_e64 v[56:57], v[48:49], -v[56:57]
	;; [unrolled: 1-line block ×7, first 2 shown]
	v_add_f64_e32 v[42:43], v[50:51], v[42:43]
	v_add_f64_e32 v[40:41], v[48:49], v[40:41]
	;; [unrolled: 1-line block ×4, first 2 shown]
	v_mul_f64_e32 v[54:55], s[30:31], v[199:200]
	v_mul_f64_e32 v[199:200], s[14:15], v[58:59]
	;; [unrolled: 1-line block ×8, first 2 shown]
	v_add_f64_e32 v[34:35], v[34:35], v[42:43]
	v_add_f64_e32 v[32:33], v[32:33], v[40:41]
	v_fma_f64 v[58:59], v[58:59], s[14:15], v[54:55]
	v_fma_f64 v[199:200], v[205:206], s[18:19], -v[199:200]
	v_fma_f64 v[44:45], v[44:45], s[28:29], -v[207:208]
	v_fma_f64 v[56:57], v[56:57], s[14:15], v[52:53]
	v_fma_f64 v[197:198], v[203:204], s[18:19], -v[197:198]
	v_fma_f64 v[46:47], v[46:47], s[28:29], -v[209:210]
	;; [unrolled: 1-line block ×4, first 2 shown]
	v_fma_f64 v[203:204], v[36:37], s[16:17], v[207:208]
	v_fma_f64 v[205:206], v[38:39], s[16:17], v[209:210]
	;; [unrolled: 1-line block ×12, first 2 shown]
	v_add_f64_e32 v[199:200], v[199:200], v[42:43]
	v_add_f64_e32 v[209:210], v[58:59], v[42:43]
	;; [unrolled: 1-line block ×7, first 2 shown]
	v_add_f64_e64 v[46:47], v[199:200], -v[211:212]
	v_add_f64_e32 v[199:200], v[82:83], v[86:87]
	v_add_f64_e64 v[82:83], v[82:83], -v[86:87]
	v_add_f64_e32 v[86:87], v[74:75], v[78:79]
	;; [unrolled: 2-line block ×3, first 2 shown]
	v_add_f64_e32 v[197:198], v[80:81], v[84:85]
	v_add_f64_e64 v[80:81], v[80:81], -v[84:85]
	v_add_f64_e32 v[84:85], v[72:73], v[76:77]
	v_add_f64_e64 v[72:73], v[72:73], -v[76:77]
	v_add_f64_e64 v[74:75], v[74:75], -v[78:79]
	v_add_f64_e32 v[76:77], v[64:65], v[68:69]
	v_add_f64_e32 v[78:79], v[66:67], v[70:71]
	v_add_f64_e64 v[64:65], v[68:69], -v[64:65]
	v_add_f64_e64 v[66:67], v[70:71], -v[66:67]
	v_add_f64_e32 v[56:57], v[207:208], v[205:206]
	v_add_f64_e64 v[58:59], v[209:210], -v[203:204]
	v_add_f64_e32 v[52:53], v[40:41], v[38:39]
	v_add_f64_e64 v[54:55], v[42:43], -v[36:37]
	v_add_f64_e64 v[40:41], v[40:41], -v[38:39]
	v_add_f64_e32 v[42:43], v[36:37], v[42:43]
	v_add_f64_e64 v[36:37], v[207:208], -v[205:206]
	v_add_f64_e32 v[38:39], v[203:204], v[209:210]
	v_add_f64_e32 v[70:71], v[86:87], v[199:200]
	v_add_f64_e64 v[205:206], v[86:87], -v[199:200]
	v_add_f64_e32 v[68:69], v[84:85], v[197:198]
	v_add_f64_e64 v[203:204], v[84:85], -v[197:198]
	v_add_f64_e64 v[197:198], v[197:198], -v[76:77]
	;; [unrolled: 1-line block ×4, first 2 shown]
	v_add_f64_e32 v[207:208], v[64:65], v[72:73]
	v_add_f64_e32 v[209:210], v[66:67], v[74:75]
	v_add_f64_e64 v[211:212], v[64:65], -v[72:73]
	v_add_f64_e64 v[84:85], v[76:77], -v[84:85]
	;; [unrolled: 1-line block ×7, first 2 shown]
	v_add_f64_e32 v[70:71], v[78:79], v[70:71]
	v_add_f64_e32 v[68:69], v[76:77], v[68:69]
	;; [unrolled: 1-line block ×4, first 2 shown]
	v_mul_f64_e32 v[82:83], s[30:31], v[199:200]
	v_mul_f64_e32 v[199:200], s[14:15], v[86:87]
	;; [unrolled: 1-line block ×8, first 2 shown]
	v_add_f64_e32 v[62:63], v[62:63], v[70:71]
	v_add_f64_e32 v[60:61], v[60:61], v[68:69]
	v_fma_f64 v[86:87], v[86:87], s[14:15], v[82:83]
	v_fma_f64 v[199:200], v[205:206], s[18:19], -v[199:200]
	v_fma_f64 v[72:73], v[72:73], s[28:29], -v[207:208]
	v_fma_f64 v[84:85], v[84:85], s[14:15], v[80:81]
	v_fma_f64 v[197:198], v[203:204], s[18:19], -v[197:198]
	v_fma_f64 v[74:75], v[74:75], s[28:29], -v[209:210]
	;; [unrolled: 1-line block ×4, first 2 shown]
	v_fma_f64 v[203:204], v[64:65], s[16:17], v[207:208]
	v_fma_f64 v[205:206], v[66:67], s[16:17], v[209:210]
	;; [unrolled: 1-line block ×12, first 2 shown]
	v_add_f64_e32 v[199:200], v[199:200], v[70:71]
	v_add_f64_e32 v[209:210], v[86:87], v[70:71]
	;; [unrolled: 1-line block ×7, first 2 shown]
	v_add_f64_e64 v[74:75], v[199:200], -v[211:212]
	v_add_f64_e32 v[199:200], v[110:111], v[114:115]
	v_add_f64_e64 v[110:111], v[110:111], -v[114:115]
	v_add_f64_e32 v[114:115], v[102:103], v[106:107]
	;; [unrolled: 2-line block ×3, first 2 shown]
	v_add_f64_e32 v[197:198], v[108:109], v[112:113]
	v_add_f64_e64 v[108:109], v[108:109], -v[112:113]
	v_add_f64_e32 v[112:113], v[100:101], v[104:105]
	v_add_f64_e64 v[100:101], v[100:101], -v[104:105]
	v_add_f64_e64 v[102:103], v[102:103], -v[106:107]
	v_add_f64_e32 v[104:105], v[92:93], v[96:97]
	v_add_f64_e32 v[106:107], v[94:95], v[98:99]
	v_add_f64_e64 v[92:93], v[96:97], -v[92:93]
	v_add_f64_e64 v[94:95], v[98:99], -v[94:95]
	v_add_f64_e32 v[84:85], v[207:208], v[205:206]
	v_add_f64_e64 v[86:87], v[209:210], -v[203:204]
	v_add_f64_e32 v[80:81], v[68:69], v[66:67]
	v_add_f64_e64 v[82:83], v[70:71], -v[64:65]
	v_add_f64_e64 v[68:69], v[68:69], -v[66:67]
	v_add_f64_e32 v[70:71], v[64:65], v[70:71]
	v_add_f64_e64 v[64:65], v[207:208], -v[205:206]
	v_add_f64_e32 v[66:67], v[203:204], v[209:210]
	v_add_f64_e32 v[98:99], v[114:115], v[199:200]
	v_add_f64_e64 v[205:206], v[114:115], -v[199:200]
	v_add_f64_e32 v[96:97], v[112:113], v[197:198]
	v_add_f64_e64 v[203:204], v[112:113], -v[197:198]
	v_add_f64_e64 v[197:198], v[197:198], -v[104:105]
	;; [unrolled: 1-line block ×4, first 2 shown]
	v_add_f64_e32 v[207:208], v[92:93], v[100:101]
	v_add_f64_e32 v[209:210], v[94:95], v[102:103]
	v_add_f64_e64 v[211:212], v[92:93], -v[100:101]
	v_add_f64_e64 v[112:113], v[104:105], -v[112:113]
	;; [unrolled: 1-line block ×7, first 2 shown]
	v_add_f64_e32 v[98:99], v[106:107], v[98:99]
	v_add_f64_e32 v[96:97], v[104:105], v[96:97]
	;; [unrolled: 1-line block ×4, first 2 shown]
	v_mul_f64_e32 v[110:111], s[30:31], v[199:200]
	v_mul_f64_e32 v[199:200], s[14:15], v[114:115]
	;; [unrolled: 1-line block ×8, first 2 shown]
	v_add_f64_e32 v[90:91], v[90:91], v[98:99]
	v_add_f64_e32 v[88:89], v[88:89], v[96:97]
	v_fma_f64 v[114:115], v[114:115], s[14:15], v[110:111]
	v_fma_f64 v[199:200], v[205:206], s[18:19], -v[199:200]
	v_fma_f64 v[100:101], v[100:101], s[28:29], -v[207:208]
	v_fma_f64 v[112:113], v[112:113], s[14:15], v[108:109]
	v_fma_f64 v[197:198], v[203:204], s[18:19], -v[197:198]
	v_fma_f64 v[102:103], v[102:103], s[28:29], -v[209:210]
	v_fma_f64 v[108:109], v[203:204], s[20:21], -v[108:109]
	v_fma_f64 v[110:111], v[205:206], s[20:21], -v[110:111]
	v_fma_f64 v[203:204], v[92:93], s[16:17], v[207:208]
	v_fma_f64 v[205:206], v[94:95], s[16:17], v[209:210]
	;; [unrolled: 1-line block ×12, first 2 shown]
	v_add_f64_e32 v[199:200], v[199:200], v[98:99]
	v_add_f64_e32 v[209:210], v[114:115], v[98:99]
	;; [unrolled: 1-line block ×7, first 2 shown]
	v_add_f64_e64 v[102:103], v[199:200], -v[211:212]
	v_add_f64_e32 v[199:200], v[162:163], v[166:167]
	v_add_f64_e64 v[162:163], v[162:163], -v[166:167]
	v_add_f64_e32 v[166:167], v[154:155], v[158:159]
	;; [unrolled: 2-line block ×3, first 2 shown]
	v_add_f64_e32 v[197:198], v[160:161], v[164:165]
	v_add_f64_e64 v[160:161], v[160:161], -v[164:165]
	v_add_f64_e32 v[164:165], v[152:153], v[156:157]
	v_add_f64_e64 v[152:153], v[152:153], -v[156:157]
	v_add_f64_e64 v[154:155], v[154:155], -v[158:159]
	v_add_f64_e32 v[156:157], v[144:145], v[148:149]
	v_add_f64_e32 v[158:159], v[146:147], v[150:151]
	v_add_f64_e64 v[144:145], v[148:149], -v[144:145]
	v_add_f64_e64 v[146:147], v[150:151], -v[146:147]
	v_add_f64_e32 v[112:113], v[207:208], v[205:206]
	v_add_f64_e64 v[114:115], v[209:210], -v[203:204]
	v_add_f64_e32 v[108:109], v[96:97], v[94:95]
	v_add_f64_e64 v[110:111], v[98:99], -v[92:93]
	v_add_f64_e64 v[96:97], v[96:97], -v[94:95]
	v_add_f64_e32 v[98:99], v[92:93], v[98:99]
	v_add_f64_e64 v[92:93], v[207:208], -v[205:206]
	v_add_f64_e32 v[94:95], v[203:204], v[209:210]
	v_add_f64_e32 v[150:151], v[166:167], v[199:200]
	v_add_f64_e64 v[205:206], v[166:167], -v[199:200]
	v_add_f64_e32 v[148:149], v[164:165], v[197:198]
	v_add_f64_e64 v[203:204], v[164:165], -v[197:198]
	v_add_f64_e64 v[197:198], v[197:198], -v[156:157]
	;; [unrolled: 1-line block ×4, first 2 shown]
	v_add_f64_e32 v[207:208], v[144:145], v[152:153]
	v_add_f64_e32 v[209:210], v[146:147], v[154:155]
	v_add_f64_e64 v[211:212], v[144:145], -v[152:153]
	v_add_f64_e64 v[164:165], v[156:157], -v[164:165]
	;; [unrolled: 1-line block ×7, first 2 shown]
	v_add_f64_e32 v[150:151], v[158:159], v[150:151]
	v_add_f64_e32 v[148:149], v[156:157], v[148:149]
	;; [unrolled: 1-line block ×4, first 2 shown]
	v_mul_f64_e32 v[162:163], s[30:31], v[199:200]
	v_mul_f64_e32 v[199:200], s[14:15], v[166:167]
	;; [unrolled: 1-line block ×8, first 2 shown]
	v_add_f64_e32 v[142:143], v[142:143], v[150:151]
	v_add_f64_e32 v[140:141], v[140:141], v[148:149]
	v_fma_f64 v[166:167], v[166:167], s[14:15], v[162:163]
	v_fma_f64 v[199:200], v[205:206], s[18:19], -v[199:200]
	v_fma_f64 v[152:153], v[152:153], s[28:29], -v[207:208]
	v_fma_f64 v[164:165], v[164:165], s[14:15], v[160:161]
	v_fma_f64 v[197:198], v[203:204], s[18:19], -v[197:198]
	v_fma_f64 v[154:155], v[154:155], s[28:29], -v[209:210]
	;; [unrolled: 1-line block ×4, first 2 shown]
	v_fma_f64 v[203:204], v[144:145], s[16:17], v[207:208]
	v_fma_f64 v[205:206], v[146:147], s[16:17], v[209:210]
	;; [unrolled: 1-line block ×12, first 2 shown]
	v_add_f64_e32 v[199:200], v[199:200], v[150:151]
	v_add_f64_e32 v[209:210], v[166:167], v[150:151]
	v_add_f64_e32 v[150:151], v[162:163], v[150:151]
	v_add_f64_e32 v[197:198], v[197:198], v[148:149]
	v_add_f64_e32 v[207:208], v[164:165], v[148:149]
	v_add_f64_e32 v[148:149], v[160:161], v[148:149]
	v_add_f64_e32 v[158:159], v[211:212], v[199:200]
	v_add_f64_e64 v[154:155], v[199:200], -v[211:212]
	v_add_f64_e32 v[199:200], v[190:191], v[194:195]
	v_add_f64_e64 v[190:191], v[190:191], -v[194:195]
	v_add_f64_e32 v[194:195], v[182:183], v[186:187]
	;; [unrolled: 2-line block ×3, first 2 shown]
	v_add_f64_e32 v[197:198], v[188:189], v[192:193]
	v_add_f64_e64 v[188:189], v[188:189], -v[192:193]
	v_add_f64_e32 v[192:193], v[180:181], v[184:185]
	v_add_f64_e64 v[180:181], v[180:181], -v[184:185]
	v_add_f64_e64 v[182:183], v[182:183], -v[186:187]
	v_add_f64_e32 v[184:185], v[172:173], v[176:177]
	v_add_f64_e32 v[186:187], v[174:175], v[178:179]
	v_add_f64_e64 v[172:173], v[176:177], -v[172:173]
	v_add_f64_e64 v[174:175], v[178:179], -v[174:175]
	v_add_f64_e32 v[164:165], v[207:208], v[205:206]
	v_add_f64_e64 v[166:167], v[209:210], -v[203:204]
	v_add_f64_e32 v[160:161], v[148:149], v[146:147]
	v_add_f64_e64 v[162:163], v[150:151], -v[144:145]
	v_add_f64_e64 v[148:149], v[148:149], -v[146:147]
	v_add_f64_e32 v[150:151], v[144:145], v[150:151]
	v_add_f64_e64 v[144:145], v[207:208], -v[205:206]
	v_add_f64_e32 v[146:147], v[203:204], v[209:210]
	v_add_f64_e32 v[178:179], v[194:195], v[199:200]
	v_add_f64_e64 v[205:206], v[194:195], -v[199:200]
	v_add_f64_e32 v[176:177], v[192:193], v[197:198]
	v_add_f64_e64 v[203:204], v[192:193], -v[197:198]
	v_add_f64_e64 v[197:198], v[197:198], -v[184:185]
	;; [unrolled: 1-line block ×4, first 2 shown]
	v_add_f64_e32 v[207:208], v[172:173], v[180:181]
	v_add_f64_e32 v[209:210], v[174:175], v[182:183]
	v_add_f64_e64 v[211:212], v[172:173], -v[180:181]
	v_add_f64_e64 v[192:193], v[184:185], -v[192:193]
	;; [unrolled: 1-line block ×7, first 2 shown]
	v_add_f64_e32 v[178:179], v[186:187], v[178:179]
	v_add_f64_e32 v[176:177], v[184:185], v[176:177]
	v_add_f64_e32 v[184:185], v[207:208], v[188:189]
	v_add_f64_e32 v[186:187], v[209:210], v[190:191]
	v_mul_f64_e32 v[190:191], s[30:31], v[199:200]
	v_mul_f64_e32 v[199:200], s[14:15], v[194:195]
	;; [unrolled: 1-line block ×8, first 2 shown]
	v_add_f64_e32 v[170:171], v[170:171], v[178:179]
	v_add_f64_e32 v[168:169], v[168:169], v[176:177]
	v_fma_f64 v[194:195], v[194:195], s[14:15], v[190:191]
	v_fma_f64 v[199:200], v[205:206], s[18:19], -v[199:200]
	v_fma_f64 v[180:181], v[180:181], s[28:29], -v[207:208]
	;; [unrolled: 1-line block ×5, first 2 shown]
	v_fma_f64 v[205:206], v[174:175], s[16:17], v[209:210]
	v_fma_f64 v[174:175], v[174:175], s[22:23], v[213:214]
	;; [unrolled: 1-line block ×3, first 2 shown]
	v_fma_f64 v[188:189], v[203:204], s[20:21], -v[188:189]
	v_fma_f64 v[203:204], v[172:173], s[16:17], v[207:208]
	v_fma_f64 v[172:173], v[172:173], s[22:23], v[211:212]
	;; [unrolled: 1-line block ×10, first 2 shown]
	v_add_f64_e32 v[199:200], v[199:200], v[178:179]
	v_add_f64_e32 v[209:210], v[194:195], v[178:179]
	v_add_f64_e32 v[178:179], v[190:191], v[178:179]
	v_add_f64_e32 v[197:198], v[197:198], v[176:177]
	v_add_f64_e32 v[207:208], v[192:193], v[176:177]
	v_add_f64_e32 v[176:177], v[188:189], v[176:177]
	v_add_f64_e32 v[186:187], v[180:181], v[199:200]
	v_add_f64_e64 v[174:175], v[199:200], -v[180:181]
	v_add_f64_e32 v[200:201], v[132:133], v[136:137]
	v_add_f64_e64 v[132:133], v[132:133], -v[136:137]
	v_add_f64_e32 v[136:137], v[124:125], v[128:129]
	;; [unrolled: 2-line block ×3, first 2 shown]
	v_add_f64_e32 v[198:199], v[134:135], v[138:139]
	v_add_f64_e64 v[134:135], v[134:135], -v[138:139]
	v_add_f64_e32 v[138:139], v[126:127], v[130:131]
	v_add_f64_e64 v[128:129], v[124:125], -v[128:129]
	v_add_f64_e64 v[130:131], v[126:127], -v[130:131]
	v_add_f64_e32 v[126:127], v[116:117], v[120:121]
	v_add_f64_e32 v[124:125], v[118:119], v[122:123]
	v_add_f64_e64 v[116:117], v[120:121], -v[116:117]
	v_add_f64_e64 v[118:119], v[122:123], -v[118:119]
	v_add_f64_e32 v[192:193], v[207:208], v[205:206]
	v_add_f64_e64 v[194:195], v[209:210], -v[203:204]
	v_add_f64_e32 v[188:189], v[176:177], v[213:214]
	v_add_f64_e64 v[190:191], v[178:179], -v[211:212]
	v_add_f64_e64 v[176:177], v[176:177], -v[213:214]
	v_add_f64_e32 v[178:179], v[211:212], v[178:179]
	v_add_f64_e64 v[180:181], v[207:208], -v[205:206]
	v_add_f64_e32 v[182:183], v[203:204], v[209:210]
	v_add_f64_e32 v[120:121], v[136:137], v[200:201]
	v_add_f64_e64 v[203:204], v[136:137], -v[200:201]
	v_add_f64_e32 v[122:123], v[138:139], v[198:199]
	v_add_f64_e64 v[205:206], v[138:139], -v[198:199]
	v_add_f64_e64 v[136:137], v[126:127], -v[136:137]
	;; [unrolled: 1-line block ×3, first 2 shown]
	v_add_f64_e32 v[207:208], v[116:117], v[128:129]
	v_add_f64_e32 v[209:210], v[118:119], v[130:131]
	v_add_f64_e64 v[211:212], v[116:117], -v[128:129]
	v_add_f64_e64 v[213:214], v[118:119], -v[130:131]
	;; [unrolled: 1-line block ×8, first 2 shown]
	v_add_f64_e32 v[120:121], v[126:127], v[120:121]
	v_add_f64_e32 v[122:123], v[124:125], v[122:123]
	;; [unrolled: 1-line block ×4, first 2 shown]
	v_mul_f64_e32 v[134:135], s[30:31], v[197:198]
	v_mul_f64_e32 v[197:198], s[14:15], v[136:137]
	;; [unrolled: 1-line block ×8, first 2 shown]
	v_mov_b32_e32 v201, v217
	v_add_f64_e32 v[0:1], v[0:1], v[120:121]
	v_add_f64_e32 v[2:3], v[2:3], v[122:123]
	v_fma_f64 v[138:139], v[138:139], s[14:15], v[134:135]
	v_fma_f64 v[197:198], v[203:204], s[18:19], -v[197:198]
	v_fma_f64 v[128:129], v[128:129], s[28:29], -v[207:208]
	v_fma_f64 v[130:131], v[130:131], s[28:29], -v[209:210]
	v_fma_f64 v[136:137], v[136:137], s[14:15], v[132:133]
	v_fma_f64 v[199:200], v[205:206], s[18:19], -v[199:200]
	v_fma_f64 v[132:133], v[203:204], s[20:21], -v[132:133]
	;; [unrolled: 1-line block ×3, first 2 shown]
	v_fma_f64 v[203:204], v[116:117], s[16:17], v[207:208]
	v_fma_f64 v[205:206], v[118:119], s[16:17], v[209:210]
	;; [unrolled: 1-line block ×12, first 2 shown]
	v_add_f64_e32 v[197:198], v[197:198], v[120:121]
	v_add_f64_e32 v[136:137], v[136:137], v[120:121]
	;; [unrolled: 1-line block ×6, first 2 shown]
	v_add_f64_e64 v[124:125], v[197:198], -v[128:129]
	v_add_f64_e32 v[128:129], v[197:198], v[128:129]
	v_mul_lo_u16 v197, v202, 7
	v_add_f64_e32 v[116:117], v[136:137], v[205:206]
	v_add_f64_e32 v[120:121], v[132:133], v[211:212]
	;; [unrolled: 1-line block ×3, first 2 shown]
	v_add_f64_e64 v[130:131], v[199:200], -v[207:208]
	v_and_b32_e32 v197, 0xffff, v197
	v_mov_b32_e32 v199, v219
	v_add_f64_e64 v[118:119], v[138:139], -v[203:204]
	v_add_f64_e64 v[122:123], v[134:135], -v[209:210]
	s_delay_alu instid0(VALU_DEP_4)
	v_dual_mov_b32 v200, v220 :: v_dual_lshlrev_b32 v197, 4, v197
	v_add_f64_e64 v[132:133], v[132:133], -v[211:212]
	v_add_f64_e32 v[134:135], v[209:210], v[134:135]
	v_add_f64_e64 v[136:137], v[136:137], -v[205:206]
	v_add_f64_e32 v[138:139], v[203:204], v[138:139]
	scratch_store_b32 off, v197, off offset:2760 ; 4-byte Folded Spill
	ds_store_b128 v197, v[4:7]
	ds_store_b128 v197, v[28:31] offset:16
	ds_store_b128 v197, v[24:27] offset:32
	;; [unrolled: 1-line block ×6, first 2 shown]
	v_mul_u32_u24_e32 v4, 7, v215
	s_delay_alu instid0(VALU_DEP_1)
	v_dual_mov_b32 v7, v218 :: v_dual_lshlrev_b32 v4, 4, v4
	scratch_store_b32 off, v4, off offset:2752 ; 4-byte Folded Spill
	ds_store_b128 v4, v[32:35]
	ds_store_b128 v4, v[56:59] offset:16
	ds_store_b128 v4, v[52:55] offset:32
	ds_store_b128 v4, v[48:51] offset:48
	ds_store_b128 v4, v[44:47] offset:64
	ds_store_b128 v4, v[40:43] offset:80
	ds_store_b128 v4, v[36:39] offset:96
	v_mul_u32_u24_e32 v4, 7, v216
	s_delay_alu instid0(VALU_DEP_1)
	v_lshlrev_b32_e32 v4, 4, v4
	scratch_store_b32 off, v4, off offset:2744 ; 4-byte Folded Spill
	ds_store_b128 v4, v[60:63]
	ds_store_b128 v4, v[84:87] offset:16
	ds_store_b128 v4, v[80:83] offset:32
	ds_store_b128 v4, v[76:79] offset:48
	ds_store_b128 v4, v[72:75] offset:64
	ds_store_b128 v4, v[68:71] offset:80
	ds_store_b128 v4, v[64:67] offset:96
	v_mul_u32_u24_e32 v4, 7, v199
	s_delay_alu instid0(VALU_DEP_1)
	v_lshlrev_b32_e32 v4, 4, v4
	;; [unrolled: 11-line block ×5, first 2 shown]
	scratch_store_b32 off, v4, off offset:1116 ; 4-byte Folded Spill
	ds_store_b128 v4, v[0:3]
	ds_store_b128 v4, v[116:119] offset:16
	ds_store_b128 v4, v[120:123] offset:32
	;; [unrolled: 1-line block ×6, first 2 shown]
	global_wb scope:SCOPE_SE
	s_wait_storecnt_dscnt 0x0
	s_barrier_signal -1
	s_barrier_wait -1
	global_inv scope:SCOPE_SE
	ds_load_b128 v[12:15], v196
	ds_load_b128 v[192:195], v196 offset:5488
	ds_load_b128 v[188:191], v196 offset:10976
	;; [unrolled: 1-line block ×28, first 2 shown]
	s_wait_dscnt 0x0
	scratch_store_b128 off, v[0:3], off offset:1168 ; 16-byte Folded Spill
	ds_load_b128 v[92:95], v196 offset:8624
	ds_load_b128 v[88:91], v196 offset:14112
	;; [unrolled: 1-line block ×7, first 2 shown]
	s_wait_dscnt 0x0
	scratch_store_b128 off, v[0:3], off offset:1036 ; 16-byte Folded Spill
	ds_load_b128 v[68:71], v196 offset:9408
	ds_load_b128 v[64:67], v196 offset:14896
	;; [unrolled: 1-line block ×7, first 2 shown]
	s_wait_dscnt 0x0
	scratch_store_b128 off, v[0:3], off offset:908 ; 16-byte Folded Spill
	v_and_b32_e32 v0, 0xff, v202
	ds_load_b128 v[44:47], v196 offset:10192
	ds_load_b128 v[40:43], v196 offset:15680
	;; [unrolled: 1-line block ×6, first 2 shown]
	v_mul_lo_u16 v0, v0, 37
	s_delay_alu instid0(VALU_DEP_1) | instskip(NEXT) | instid1(VALU_DEP_1)
	v_lshrrev_b16 v0, 8, v0
	v_sub_nc_u16 v1, v202, v0
	s_delay_alu instid0(VALU_DEP_1) | instskip(NEXT) | instid1(VALU_DEP_1)
	v_lshrrev_b16 v1, 1, v1
	v_and_b32_e32 v1, 0x7f, v1
	s_delay_alu instid0(VALU_DEP_1) | instskip(NEXT) | instid1(VALU_DEP_1)
	v_add_nc_u16 v0, v1, v0
	v_lshrrev_b16 v0, 2, v0
	scratch_store_b32 off, v0, off offset:940 ; 4-byte Folded Spill
	v_mul_lo_u16 v0, v0, 7
	s_delay_alu instid0(VALU_DEP_1) | instskip(NEXT) | instid1(VALU_DEP_1)
	v_sub_nc_u16 v0, v202, v0
	v_and_b32_e32 v0, 0xff, v0
	scratch_store_b32 off, v0, off offset:972 ; 4-byte Folded Spill
	v_mul_u32_u24_e32 v0, 6, v0
	s_delay_alu instid0(VALU_DEP_1)
	v_lshlrev_b32_e32 v2, 4, v0
	s_clause 0x1
	global_load_b128 v[100:103], v2, s[6:7] offset:48
	global_load_b128 v[32:35], v2, s[6:7] offset:32
	s_wait_loadcnt 0x0
	scratch_store_b128 off, v[32:35], off offset:1592 ; 16-byte Folded Spill
	s_clause 0x1
	global_load_b128 v[8:11], v2, s[6:7] offset:16
	global_load_b128 v[3:6], v2, s[6:7]
	scratch_store_b128 off, v[100:103], off offset:1608 ; 16-byte Folded Spill
	s_wait_loadcnt 0x1
	scratch_store_b128 off, v[8:11], off offset:1576 ; 16-byte Folded Spill
	s_wait_loadcnt 0x0
	v_mul_f64_e32 v[0:1], v[194:195], v[5:6]
	scratch_store_b128 off, v[3:6], off offset:1560 ; 16-byte Folded Spill
	v_fma_f64 v[197:198], v[192:193], v[3:4], -v[0:1]
	v_mul_f64_e32 v[0:1], v[192:193], v[5:6]
	s_delay_alu instid0(VALU_DEP_1) | instskip(SKIP_1) | instid1(VALU_DEP_1)
	v_fma_f64 v[28:29], v[194:195], v[3:4], v[0:1]
	v_mul_f64_e32 v[0:1], v[190:191], v[10:11]
	v_fma_f64 v[30:31], v[188:189], v[8:9], -v[0:1]
	v_mul_f64_e32 v[0:1], v[188:189], v[10:11]
	s_delay_alu instid0(VALU_DEP_1) | instskip(SKIP_1) | instid1(VALU_DEP_1)
	v_fma_f64 v[4:5], v[190:191], v[8:9], v[0:1]
	v_mul_f64_e32 v[0:1], v[186:187], v[34:35]
	;; [unrolled: 5-line block ×3, first 2 shown]
	v_fma_f64 v[34:35], v[180:181], v[100:101], -v[0:1]
	v_mul_f64_e32 v[0:1], v[180:181], v[102:103]
	s_delay_alu instid0(VALU_DEP_1)
	v_fma_f64 v[180:181], v[182:183], v[100:101], v[0:1]
	s_clause 0x1
	global_load_b128 v[100:103], v2, s[6:7] offset:80
	global_load_b128 v[182:185], v2, s[6:7] offset:64
	scratch_store_b32 off, v215, off offset:924 ; 4-byte Folded Spill
	s_wait_loadcnt 0x1
	v_mul_f64_e32 v[32:33], v[172:173], v[102:103]
	s_wait_loadcnt 0x0
	v_mul_f64_e32 v[0:1], v[178:179], v[184:185]
	s_clause 0x1
	scratch_store_b128 off, v[182:185], off offset:1692
	scratch_store_b128 off, v[100:103], off offset:1708
	v_fma_f64 v[2:3], v[176:177], v[182:183], -v[0:1]
	v_mul_f64_e32 v[0:1], v[176:177], v[184:185]
	s_delay_alu instid0(VALU_DEP_1) | instskip(SKIP_1) | instid1(VALU_DEP_1)
	v_fma_f64 v[178:179], v[178:179], v[182:183], v[0:1]
	v_mul_f64_e32 v[0:1], v[174:175], v[102:103]
	v_fma_f64 v[0:1], v[172:173], v[100:101], -v[0:1]
	v_fma_f64 v[172:173], v[174:175], v[100:101], v[32:33]
	v_and_b32_e32 v32, 0xff, v215
	s_delay_alu instid0(VALU_DEP_1) | instskip(NEXT) | instid1(VALU_DEP_1)
	v_mul_lo_u16 v32, v32, 37
	v_lshrrev_b16 v32, 8, v32
	s_delay_alu instid0(VALU_DEP_1) | instskip(NEXT) | instid1(VALU_DEP_1)
	v_sub_nc_u16 v33, v215, v32
	v_lshrrev_b16 v33, 1, v33
	s_delay_alu instid0(VALU_DEP_1) | instskip(NEXT) | instid1(VALU_DEP_1)
	v_and_b32_e32 v33, 0x7f, v33
	v_add_nc_u16 v32, v33, v32
	s_delay_alu instid0(VALU_DEP_1) | instskip(NEXT) | instid1(VALU_DEP_1)
	v_lshrrev_b16 v6, 2, v32
	v_mul_lo_u16 v32, v6, 7
	scratch_store_b32 off, v6, off offset:1004 ; 4-byte Folded Spill
	v_sub_nc_u16 v32, v215, v32
	s_delay_alu instid0(VALU_DEP_1) | instskip(NEXT) | instid1(VALU_DEP_1)
	v_and_b32_e32 v6, 0xff, v32
	v_mul_u32_u24_e32 v32, 6, v6
	scratch_store_b32 off, v6, off offset:1020 ; 4-byte Folded Spill
	v_and_b32_e32 v6, 0xff, v216
	v_lshlrev_b32_e32 v174, 4, v32
	s_clause 0x1
	global_load_b128 v[182:185], v174, s[6:7] offset:48
	global_load_b128 v[186:189], v174, s[6:7] offset:32
	s_wait_loadcnt 0x0
	scratch_store_b128 off, v[186:189], off offset:1904 ; 16-byte Folded Spill
	s_clause 0x1
	global_load_b128 v[100:103], v174, s[6:7] offset:16
	global_load_b128 v[190:193], v174, s[6:7]
	s_clause 0x2
	scratch_store_b32 off, v6, off offset:796
	scratch_store_b128 off, v[182:185], off offset:1936
	scratch_store_b32 off, v216, off offset:876
	s_wait_loadcnt 0x1
	scratch_store_b128 off, v[100:103], off offset:1872 ; 16-byte Folded Spill
	s_wait_loadcnt 0x0
	v_mul_f64_e32 v[32:33], v[170:171], v[192:193]
	scratch_store_b128 off, v[190:193], off offset:1856 ; 16-byte Folded Spill
	v_fma_f64 v[240:241], v[168:169], v[190:191], -v[32:33]
	v_mul_f64_e32 v[32:33], v[168:169], v[192:193]
	s_delay_alu instid0(VALU_DEP_1) | instskip(SKIP_1) | instid1(VALU_DEP_1)
	v_fma_f64 v[244:245], v[170:171], v[190:191], v[32:33]
	v_mul_f64_e32 v[32:33], v[166:167], v[102:103]
	v_fma_f64 v[238:239], v[164:165], v[100:101], -v[32:33]
	v_mul_f64_e32 v[32:33], v[164:165], v[102:103]
	s_delay_alu instid0(VALU_DEP_1) | instskip(SKIP_1) | instid1(VALU_DEP_1)
	v_fma_f64 v[242:243], v[166:167], v[100:101], v[32:33]
	v_mul_f64_e32 v[32:33], v[162:163], v[188:189]
	v_fma_f64 v[102:103], v[160:161], v[186:187], -v[32:33]
	v_mul_f64_e32 v[32:33], v[160:161], v[188:189]
	s_delay_alu instid0(VALU_DEP_1) | instskip(SKIP_4) | instid1(VALU_DEP_1)
	v_fma_f64 v[100:101], v[162:163], v[186:187], v[32:33]
	v_mul_f64_e32 v[32:33], v[158:159], v[184:185]
	global_load_b128 v[160:163], v174, s[6:7] offset:64
	v_fma_f64 v[246:247], v[156:157], v[182:183], -v[32:33]
	v_mul_f64_e32 v[32:33], v[156:157], v[184:185]
	v_fma_f64 v[248:249], v[158:159], v[182:183], v[32:33]
	global_load_b128 v[156:159], v174, s[6:7] offset:80
	s_wait_loadcnt 0x1
	v_mul_f64_e32 v[32:33], v[154:155], v[162:163]
	scratch_store_b128 off, v[160:163], off offset:1988 ; 16-byte Folded Spill
	v_fma_f64 v[250:251], v[152:153], v[160:161], -v[32:33]
	v_mul_f64_e32 v[32:33], v[152:153], v[162:163]
	s_delay_alu instid0(VALU_DEP_1)
	v_fma_f64 v[252:253], v[154:155], v[160:161], v[32:33]
	s_wait_loadcnt 0x0
	v_mul_f64_e32 v[32:33], v[150:151], v[158:159]
	scratch_store_b128 off, v[156:159], off offset:2004 ; 16-byte Folded Spill
	v_fma_f64 v[254:255], v[148:149], v[156:157], -v[32:33]
	v_mul_f64_e32 v[32:33], v[148:149], v[158:159]
	v_mul_lo_u16 v148, v6, 37
	s_delay_alu instid0(VALU_DEP_1) | instskip(NEXT) | instid1(VALU_DEP_1)
	v_lshrrev_b16 v148, 8, v148
	v_sub_nc_u16 v149, v216, v148
	s_delay_alu instid0(VALU_DEP_1) | instskip(NEXT) | instid1(VALU_DEP_1)
	v_lshrrev_b16 v149, 1, v149
	v_and_b32_e32 v149, 0x7f, v149
	s_delay_alu instid0(VALU_DEP_1) | instskip(NEXT) | instid1(VALU_DEP_1)
	v_add_nc_u16 v148, v149, v148
	v_lshrrev_b16 v6, 2, v148
	s_delay_alu instid0(VALU_DEP_1) | instskip(SKIP_3) | instid1(VALU_DEP_1)
	v_mul_lo_u16 v148, v6, 7
	scratch_store_b32 off, v6, off offset:1052 ; 4-byte Folded Spill
	v_fma_f64 v[32:33], v[150:151], v[156:157], v[32:33]
	v_sub_nc_u16 v148, v216, v148
	v_and_b32_e32 v6, 0xff, v148
	s_delay_alu instid0(VALU_DEP_1)
	v_mul_u32_u24_e32 v148, 6, v6
	scratch_store_b32 off, v6, off offset:1068 ; 4-byte Folded Spill
	v_lshlrev_b32_e32 v150, 4, v148
	s_clause 0x3
	global_load_b128 v[151:154], v150, s[6:7] offset:48
	global_load_b128 v[155:158], v150, s[6:7] offset:32
	;; [unrolled: 1-line block ×3, first 2 shown]
	global_load_b128 v[163:166], v150, s[6:7]
	s_wait_loadcnt 0x3
	scratch_store_b128 off, v[151:154], off offset:2260 ; 16-byte Folded Spill
	s_wait_loadcnt 0x2
	scratch_store_b128 off, v[155:158], off offset:2244 ; 16-byte Folded Spill
	s_wait_loadcnt 0x1
	scratch_store_b128 off, v[159:162], off offset:2228 ; 16-byte Folded Spill
	s_wait_loadcnt 0x0
	v_mul_f64_e32 v[148:149], v[146:147], v[165:166]
	scratch_store_b128 off, v[163:166], off offset:2196 ; 16-byte Folded Spill
	v_fma_f64 v[218:219], v[144:145], v[163:164], -v[148:149]
	v_mul_f64_e32 v[144:145], v[144:145], v[165:166]
	s_delay_alu instid0(VALU_DEP_1) | instskip(SKIP_1) | instid1(VALU_DEP_1)
	v_fma_f64 v[220:221], v[146:147], v[163:164], v[144:145]
	v_mul_f64_e32 v[144:145], v[142:143], v[161:162]
	v_fma_f64 v[204:205], v[140:141], v[159:160], -v[144:145]
	v_mul_f64_e32 v[140:141], v[140:141], v[161:162]
	s_delay_alu instid0(VALU_DEP_1) | instskip(SKIP_1) | instid1(VALU_DEP_1)
	v_fma_f64 v[216:217], v[142:143], v[159:160], v[140:141]
	v_mul_f64_e32 v[140:141], v[138:139], v[157:158]
	;; [unrolled: 5-line block ×3, first 2 shown]
	v_fma_f64 v[222:223], v[132:133], v[151:152], -v[136:137]
	v_mul_f64_e32 v[132:133], v[132:133], v[153:154]
	s_delay_alu instid0(VALU_DEP_1)
	v_fma_f64 v[224:225], v[134:135], v[151:152], v[132:133]
	s_clause 0x1
	global_load_b128 v[134:137], v150, s[6:7] offset:80
	global_load_b128 v[138:141], v150, s[6:7] offset:64
	s_wait_loadcnt 0x1
	scratch_store_b128 off, v[134:137], off offset:2324 ; 16-byte Folded Spill
	s_wait_loadcnt 0x0
	v_mul_f64_e32 v[132:133], v[130:131], v[140:141]
	scratch_store_b128 off, v[138:141], off offset:2308 ; 16-byte Folded Spill
	v_fma_f64 v[226:227], v[128:129], v[138:139], -v[132:133]
	v_mul_f64_e32 v[128:129], v[128:129], v[140:141]
	s_delay_alu instid0(VALU_DEP_1) | instskip(SKIP_1) | instid1(VALU_DEP_1)
	v_fma_f64 v[228:229], v[130:131], v[138:139], v[128:129]
	v_mul_f64_e32 v[128:129], v[126:127], v[136:137]
	v_fma_f64 v[230:231], v[124:125], v[134:135], -v[128:129]
	v_mul_f64_e32 v[124:125], v[124:125], v[136:137]
	s_delay_alu instid0(VALU_DEP_1) | instskip(SKIP_1) | instid1(VALU_DEP_1)
	v_fma_f64 v[232:233], v[126:127], v[134:135], v[124:125]
	v_mov_b32_e32 v126, v199
	v_and_b32_e32 v6, 0xff, v126
	scratch_store_b32 off, v126, off offset:892 ; 4-byte Folded Spill
	v_mul_lo_u16 v124, v6, 37
	scratch_store_b32 off, v6, off offset:812 ; 4-byte Folded Spill
	v_lshrrev_b16 v124, 8, v124
	s_delay_alu instid0(VALU_DEP_1) | instskip(NEXT) | instid1(VALU_DEP_1)
	v_sub_nc_u16 v125, v126, v124
	v_lshrrev_b16 v125, 1, v125
	s_delay_alu instid0(VALU_DEP_1) | instskip(NEXT) | instid1(VALU_DEP_1)
	v_and_b32_e32 v125, 0x7f, v125
	v_add_nc_u16 v124, v125, v124
	s_delay_alu instid0(VALU_DEP_1) | instskip(NEXT) | instid1(VALU_DEP_1)
	v_lshrrev_b16 v6, 2, v124
	v_mul_lo_u16 v124, v6, 7
	scratch_store_b32 off, v6, off offset:1084 ; 4-byte Folded Spill
	v_sub_nc_u16 v124, v126, v124
	s_delay_alu instid0(VALU_DEP_1) | instskip(NEXT) | instid1(VALU_DEP_1)
	v_and_b32_e32 v6, 0xff, v124
	v_mul_u32_u24_e32 v124, 6, v6
	scratch_store_b32 off, v6, off offset:1100 ; 4-byte Folded Spill
	v_lshlrev_b32_e32 v130, 4, v124
	s_clause 0x3
	global_load_b128 v[131:134], v130, s[6:7] offset:48
	global_load_b128 v[135:138], v130, s[6:7] offset:32
	;; [unrolled: 1-line block ×3, first 2 shown]
	global_load_b128 v[143:146], v130, s[6:7]
	s_wait_loadcnt 0x3
	scratch_store_b128 off, v[131:134], off offset:2392 ; 16-byte Folded Spill
	s_wait_loadcnt 0x2
	scratch_store_b128 off, v[135:138], off offset:2376 ; 16-byte Folded Spill
	;; [unrolled: 2-line block ×3, first 2 shown]
	s_wait_loadcnt 0x0
	v_mul_f64_e32 v[124:125], v[122:123], v[145:146]
	scratch_store_b128 off, v[143:146], off offset:2344 ; 16-byte Folded Spill
	v_fma_f64 v[126:127], v[120:121], v[143:144], -v[124:125]
	v_mul_f64_e32 v[120:121], v[120:121], v[145:146]
	s_delay_alu instid0(VALU_DEP_1) | instskip(SKIP_1) | instid1(VALU_DEP_1)
	v_fma_f64 v[124:125], v[122:123], v[143:144], v[120:121]
	v_mul_f64_e32 v[120:121], v[118:119], v[141:142]
	v_fma_f64 v[128:129], v[116:117], v[139:140], -v[120:121]
	v_mul_f64_e32 v[116:117], v[116:117], v[141:142]
	s_delay_alu instid0(VALU_DEP_1) | instskip(SKIP_1) | instid1(VALU_DEP_1)
	v_fma_f64 v[116:117], v[118:119], v[139:140], v[116:117]
	v_mul_f64_e32 v[118:119], v[114:115], v[137:138]
	v_fma_f64 v[118:119], v[112:113], v[135:136], -v[118:119]
	v_mul_f64_e32 v[112:113], v[112:113], v[137:138]
	s_delay_alu instid0(VALU_DEP_1) | instskip(SKIP_1) | instid1(VALU_DEP_1)
	v_fma_f64 v[114:115], v[114:115], v[135:136], v[112:113]
	v_mul_f64_e32 v[112:113], v[110:111], v[133:134]
	v_fma_f64 v[112:113], v[108:109], v[131:132], -v[112:113]
	v_mul_f64_e32 v[108:109], v[108:109], v[133:134]
	s_delay_alu instid0(VALU_DEP_1)
	v_fma_f64 v[108:109], v[110:111], v[131:132], v[108:109]
	s_clause 0x1
	global_load_b128 v[120:123], v130, s[6:7] offset:80
	global_load_b128 v[130:133], v130, s[6:7] offset:64
	s_wait_loadcnt 0x1
	scratch_store_b128 off, v[120:123], off offset:2428 ; 16-byte Folded Spill
	s_wait_loadcnt 0x0
	v_mul_f64_e32 v[110:111], v[106:107], v[132:133]
	scratch_store_b128 off, v[130:133], off offset:2412 ; 16-byte Folded Spill
	v_fma_f64 v[110:111], v[104:105], v[130:131], -v[110:111]
	v_mul_f64_e32 v[104:105], v[104:105], v[132:133]
	s_delay_alu instid0(VALU_DEP_1) | instskip(SKIP_1) | instid1(VALU_DEP_1)
	v_fma_f64 v[104:105], v[106:107], v[130:131], v[104:105]
	v_mul_f64_e32 v[106:107], v[98:99], v[122:123]
	v_fma_f64 v[106:107], v[96:97], v[120:121], -v[106:107]
	v_mul_f64_e32 v[96:97], v[96:97], v[122:123]
	s_delay_alu instid0(VALU_DEP_1) | instskip(SKIP_1) | instid1(VALU_DEP_1)
	v_fma_f64 v[96:97], v[98:99], v[120:121], v[96:97]
	v_mov_b32_e32 v120, v200
	v_and_b32_e32 v6, 0xff, v120
	scratch_store_b32 off, v120, off offset:956 ; 4-byte Folded Spill
	v_mul_lo_u16 v98, v6, 37
	scratch_store_b32 off, v6, off offset:828 ; 4-byte Folded Spill
	v_lshrrev_b16 v98, 8, v98
	s_delay_alu instid0(VALU_DEP_1) | instskip(NEXT) | instid1(VALU_DEP_1)
	v_sub_nc_u16 v99, v120, v98
	v_lshrrev_b16 v99, 1, v99
	s_delay_alu instid0(VALU_DEP_1) | instskip(NEXT) | instid1(VALU_DEP_1)
	v_and_b32_e32 v99, 0x7f, v99
	v_add_nc_u16 v98, v99, v98
	s_delay_alu instid0(VALU_DEP_1) | instskip(NEXT) | instid1(VALU_DEP_1)
	v_lshrrev_b16 v6, 2, v98
	v_mul_lo_u16 v98, v6, 7
	scratch_store_b32 off, v6, off offset:1120 ; 4-byte Folded Spill
	v_sub_nc_u16 v98, v120, v98
	s_delay_alu instid0(VALU_DEP_1) | instskip(NEXT) | instid1(VALU_DEP_1)
	v_and_b32_e32 v6, 0xff, v98
	v_mul_u32_u24_e32 v98, 6, v6
	scratch_store_b32 off, v6, off offset:1136 ; 4-byte Folded Spill
	v_and_b32_e32 v6, 0xffff, v7
	v_lshlrev_b32_e32 v120, 4, v98
	s_clause 0x3
	global_load_b128 v[130:133], v120, s[6:7] offset:48
	global_load_b128 v[134:137], v120, s[6:7] offset:32
	;; [unrolled: 1-line block ×3, first 2 shown]
	global_load_b128 v[138:141], v120, s[6:7]
	s_wait_loadcnt 0x2
	scratch_store_b128 off, v[134:137], off offset:2476 ; 16-byte Folded Spill
	s_wait_loadcnt 0x1
	scratch_store_b128 off, v[144:147], off offset:2460 ; 16-byte Folded Spill
	s_wait_loadcnt 0x0
	v_mul_f64_e32 v[98:99], v[94:95], v[140:141]
	scratch_store_b128 off, v[138:141], off offset:2444 ; 16-byte Folded Spill
	v_fma_f64 v[142:143], v[92:93], v[138:139], -v[98:99]
	v_mul_f64_e32 v[92:93], v[92:93], v[140:141]
	s_delay_alu instid0(VALU_DEP_1) | instskip(SKIP_1) | instid1(VALU_DEP_1)
	v_fma_f64 v[140:141], v[94:95], v[138:139], v[92:93]
	v_mul_f64_e32 v[92:93], v[90:91], v[146:147]
	v_fma_f64 v[150:151], v[88:89], v[144:145], -v[92:93]
	v_mul_f64_e32 v[88:89], v[88:89], v[146:147]
	v_add_f64_e64 v[92:93], v[108:109], -v[114:115]
	s_delay_alu instid0(VALU_DEP_2) | instskip(SKIP_1) | instid1(VALU_DEP_1)
	v_fma_f64 v[148:149], v[90:91], v[144:145], v[88:89]
	v_mul_f64_e32 v[88:89], v[86:87], v[136:137]
	v_fma_f64 v[154:155], v[84:85], v[134:135], -v[88:89]
	v_mul_f64_e32 v[84:85], v[84:85], v[136:137]
	s_delay_alu instid0(VALU_DEP_1) | instskip(SKIP_3) | instid1(VALU_DEP_2)
	v_fma_f64 v[152:153], v[86:87], v[134:135], v[84:85]
	v_mov_b32_e32 v86, v130
	v_dual_mov_b32 v88, v132 :: v_dual_mov_b32 v89, v133
	v_mov_b32_e32 v87, v131
	v_mul_f64_e32 v[84:85], v[82:83], v[88:89]
	scratch_store_b128 off, v[86:89], off offset:2492 ; 16-byte Folded Spill
	v_fma_f64 v[133:134], v[80:81], v[86:87], -v[84:85]
	v_mul_f64_e32 v[80:81], v[80:81], v[88:89]
	s_delay_alu instid0(VALU_DEP_1)
	v_fma_f64 v[130:131], v[82:83], v[86:87], v[80:81]
	s_clause 0x1
	global_load_b128 v[82:85], v120, s[6:7] offset:80
	global_load_b128 v[86:89], v120, s[6:7] offset:64
	s_clause 0x1
	scratch_store_b32 off, v6, off offset:860
	scratch_store_b32 off, v7, off offset:988
	s_wait_loadcnt 0x1
	scratch_store_b128 off, v[82:85], off offset:2528 ; 16-byte Folded Spill
	s_wait_loadcnt 0x0
	v_mul_f64_e32 v[80:81], v[78:79], v[88:89]
	scratch_store_b128 off, v[86:89], off offset:2512 ; 16-byte Folded Spill
	v_fma_f64 v[136:137], v[76:77], v[86:87], -v[80:81]
	v_mul_f64_e32 v[76:77], v[76:77], v[88:89]
	s_delay_alu instid0(VALU_DEP_1) | instskip(SKIP_1) | instid1(VALU_DEP_1)
	v_fma_f64 v[138:139], v[78:79], v[86:87], v[76:77]
	v_mul_f64_e32 v[76:77], v[74:75], v[84:85]
	v_fma_f64 v[144:145], v[72:73], v[82:83], -v[76:77]
	v_mul_f64_e32 v[72:73], v[72:73], v[84:85]
	s_delay_alu instid0(VALU_DEP_1) | instskip(SKIP_1) | instid1(VALU_DEP_1)
	v_fma_f64 v[146:147], v[74:75], v[82:83], v[72:73]
	v_mul_u32_u24_e32 v72, 0x2493, v6
	v_lshrrev_b32_e32 v72, 16, v72
	s_delay_alu instid0(VALU_DEP_1) | instskip(NEXT) | instid1(VALU_DEP_1)
	v_sub_nc_u16 v73, v7, v72
	v_lshrrev_b16 v73, 1, v73
	s_delay_alu instid0(VALU_DEP_1) | instskip(NEXT) | instid1(VALU_DEP_1)
	v_add_nc_u16 v72, v73, v72
	v_lshrrev_b16 v6, 2, v72
	s_delay_alu instid0(VALU_DEP_1) | instskip(SKIP_3) | instid1(VALU_DEP_1)
	v_mul_lo_u16 v72, v6, 7
	scratch_store_b32 off, v6, off offset:1152 ; 4-byte Folded Spill
	v_and_b32_e32 v6, 0xffff, v201
	v_sub_nc_u16 v132, v7, v72
	v_mul_lo_u16 v72, v132, 6
	s_delay_alu instid0(VALU_DEP_1) | instskip(NEXT) | instid1(VALU_DEP_1)
	v_and_b32_e32 v72, 0xffff, v72
	v_lshlrev_b32_e32 v74, 4, v72
	s_clause 0x3
	global_load_b128 v[75:78], v74, s[6:7] offset:48
	global_load_b128 v[79:82], v74, s[6:7] offset:32
	;; [unrolled: 1-line block ×3, first 2 shown]
	global_load_b128 v[87:90], v74, s[6:7]
	s_wait_loadcnt 0x3
	scratch_store_b128 off, v[75:78], off offset:2592 ; 16-byte Folded Spill
	s_wait_loadcnt 0x2
	scratch_store_b128 off, v[79:82], off offset:2576 ; 16-byte Folded Spill
	s_wait_loadcnt 0x1
	scratch_store_b128 off, v[83:86], off offset:2560 ; 16-byte Folded Spill
	s_wait_loadcnt 0x0
	v_mul_f64_e32 v[72:73], v[70:71], v[89:90]
	scratch_store_b128 off, v[87:90], off offset:2544 ; 16-byte Folded Spill
	v_fma_f64 v[176:177], v[68:69], v[87:88], -v[72:73]
	v_mul_f64_e32 v[68:69], v[68:69], v[89:90]
	v_add_f64_e64 v[90:91], v[112:113], -v[118:119]
	s_delay_alu instid0(VALU_DEP_2) | instskip(SKIP_3) | instid1(VALU_DEP_3)
	v_fma_f64 v[158:159], v[70:71], v[87:88], v[68:69]
	v_mul_f64_e32 v[68:69], v[66:67], v[85:86]
	v_add_f64_e32 v[88:89], v[114:115], v[108:109]
	v_add_f64_e32 v[114:115], v[154:155], v[133:134]
	v_fma_f64 v[182:183], v[64:65], v[83:84], -v[68:69]
	v_mul_f64_e32 v[64:65], v[64:65], v[85:86]
	v_add_f64_e32 v[86:87], v[118:119], v[112:113]
	v_add_f64_e64 v[118:119], v[133:134], -v[154:155]
	s_delay_alu instid0(VALU_DEP_3) | instskip(SKIP_1) | instid1(VALU_DEP_1)
	v_fma_f64 v[156:157], v[66:67], v[83:84], v[64:65]
	v_mul_f64_e32 v[64:65], v[62:63], v[81:82]
	v_fma_f64 v[186:187], v[60:61], v[79:80], -v[64:65]
	v_mul_f64_e32 v[60:61], v[60:61], v[81:82]
	s_delay_alu instid0(VALU_DEP_1) | instskip(SKIP_1) | instid1(VALU_DEP_1)
	v_fma_f64 v[184:185], v[62:63], v[79:80], v[60:61]
	v_mul_f64_e32 v[60:61], v[58:59], v[77:78]
	v_fma_f64 v[160:161], v[56:57], v[75:76], -v[60:61]
	v_mul_f64_e32 v[56:57], v[56:57], v[77:78]
	s_delay_alu instid0(VALU_DEP_1)
	v_fma_f64 v[162:163], v[58:59], v[75:76], v[56:57]
	s_clause 0x1
	global_load_b128 v[58:61], v74, s[6:7] offset:80
	global_load_b128 v[62:65], v74, s[6:7] offset:64
	scratch_store_b32 off, v6, off offset:844 ; 4-byte Folded Spill
	v_add_f64_e64 v[154:155], v[162:163], -v[184:185]
	s_wait_loadcnt 0x1
	scratch_store_b128 off, v[58:61], off offset:2624 ; 16-byte Folded Spill
	s_wait_loadcnt 0x0
	v_mul_f64_e32 v[56:57], v[54:55], v[64:65]
	scratch_store_b128 off, v[62:65], off offset:2608 ; 16-byte Folded Spill
	v_fma_f64 v[164:165], v[52:53], v[62:63], -v[56:57]
	v_mul_f64_e32 v[52:53], v[52:53], v[64:65]
	s_delay_alu instid0(VALU_DEP_1) | instskip(SKIP_1) | instid1(VALU_DEP_1)
	v_fma_f64 v[166:167], v[54:55], v[62:63], v[52:53]
	v_mul_f64_e32 v[52:53], v[50:51], v[60:61]
	v_fma_f64 v[168:169], v[48:49], v[58:59], -v[52:53]
	v_mul_f64_e32 v[48:49], v[48:49], v[60:61]
	s_delay_alu instid0(VALU_DEP_1) | instskip(SKIP_1) | instid1(VALU_DEP_1)
	v_fma_f64 v[170:171], v[50:51], v[58:59], v[48:49]
	v_mul_u32_u24_e32 v48, 0x2493, v6
	v_lshrrev_b32_e32 v48, 16, v48
	s_delay_alu instid0(VALU_DEP_1) | instskip(NEXT) | instid1(VALU_DEP_1)
	v_sub_nc_u16 v49, v201, v48
	v_lshrrev_b16 v49, 1, v49
	s_delay_alu instid0(VALU_DEP_1) | instskip(NEXT) | instid1(VALU_DEP_1)
	v_add_nc_u16 v48, v49, v48
	v_lshrrev_b16 v135, 2, v48
	s_delay_alu instid0(VALU_DEP_1) | instskip(NEXT) | instid1(VALU_DEP_1)
	v_mul_lo_u16 v48, v135, 7
	v_sub_nc_u16 v48, v201, v48
	s_delay_alu instid0(VALU_DEP_1) | instskip(NEXT) | instid1(VALU_DEP_1)
	v_mul_lo_u16 v49, v48, 6
	v_and_b32_e32 v49, 0xffff, v49
	s_delay_alu instid0(VALU_DEP_1)
	v_lshlrev_b32_e32 v51, 4, v49
	s_clause 0x3
	global_load_b128 v[52:55], v51, s[6:7] offset:48
	global_load_b128 v[56:59], v51, s[6:7] offset:32
	;; [unrolled: 1-line block ×3, first 2 shown]
	global_load_b128 v[64:67], v51, s[6:7]
	s_wait_loadcnt_dscnt 0x5
	v_mul_f64_e32 v[49:50], v[46:47], v[66:67]
	s_delay_alu instid0(VALU_DEP_1)
	v_fma_f64 v[6:7], v[44:45], v[64:65], -v[49:50]
	v_mul_f64_e32 v[44:45], v[44:45], v[66:67]
	s_clause 0x1
	scratch_store_b64 off, v[6:7], off offset:1264
	scratch_store_b128 off, v[64:67], off offset:2648
	v_fma_f64 v[6:7], v[46:47], v[64:65], v[44:45]
	s_wait_dscnt 0x4
	v_mul_f64_e32 v[44:45], v[42:43], v[62:63]
	s_clause 0x1
	scratch_store_b64 off, v[6:7], off offset:1280
	scratch_store_b128 off, v[60:63], off offset:2664
	v_fma_f64 v[6:7], v[40:41], v[60:61], -v[44:45]
	v_mul_f64_e32 v[40:41], v[40:41], v[62:63]
	v_add_f64_e64 v[62:63], v[222:223], -v[202:203]
	v_add_f64_e64 v[64:65], v[224:225], -v[214:215]
	scratch_store_b64 off, v[6:7], off offset:1200 ; 8-byte Folded Spill
	v_fma_f64 v[6:7], v[42:43], v[60:61], v[40:41]
	s_wait_dscnt 0x3
	v_mul_f64_e32 v[40:41], v[38:39], v[58:59]
	s_clause 0x1
	scratch_store_b64 off, v[6:7], off offset:1216
	scratch_store_b128 off, v[56:59], off offset:2680
	v_fma_f64 v[199:200], v[36:37], v[56:57], -v[40:41]
	v_mul_f64_e32 v[36:37], v[36:37], v[58:59]
	s_delay_alu instid0(VALU_DEP_1)
	v_fma_f64 v[6:7], v[38:39], v[56:57], v[36:37]
	s_wait_dscnt 0x2
	v_mul_f64_e32 v[36:37], v[26:27], v[54:55]
	s_clause 0x1
	scratch_store_b64 off, v[6:7], off offset:1184
	scratch_store_b128 off, v[52:55], off offset:2696
	v_fma_f64 v[6:7], v[24:25], v[52:53], -v[36:37]
	v_mul_f64_e32 v[24:25], v[24:25], v[54:55]
	scratch_store_b64 off, v[6:7], off offset:1232 ; 8-byte Folded Spill
	v_fma_f64 v[6:7], v[26:27], v[52:53], v[24:25]
	v_add_f64_e32 v[26:27], v[8:9], v[180:181]
	v_add_f64_e64 v[8:9], v[180:181], -v[8:9]
	scratch_store_b64 off, v[6:7], off offset:1248 ; 8-byte Folded Spill
	s_clause 0x1
	global_load_b128 v[36:39], v51, s[6:7] offset:80
	global_load_b128 v[40:43], v51, s[6:7] offset:64
	v_add_f64_e64 v[6:7], v[28:29], -v[172:173]
	s_wait_loadcnt 0x1
	scratch_store_b128 off, v[36:39], off offset:2728 ; 16-byte Folded Spill
	s_wait_loadcnt_dscnt 0x1
	v_mul_f64_e32 v[24:25], v[22:23], v[42:43]
	scratch_store_b128 off, v[40:43], off offset:2712 ; 16-byte Folded Spill
	v_fma_f64 v[188:189], v[20:21], v[40:41], -v[24:25]
	v_mul_f64_e32 v[20:21], v[20:21], v[42:43]
	v_add_f64_e32 v[24:25], v[10:11], v[34:35]
	v_add_f64_e64 v[10:11], v[34:35], -v[10:11]
	s_delay_alu instid0(VALU_DEP_3) | instskip(SKIP_4) | instid1(VALU_DEP_3)
	v_fma_f64 v[190:191], v[22:23], v[40:41], v[20:21]
	s_wait_dscnt 0x0
	v_mul_f64_e32 v[20:21], v[18:19], v[38:39]
	v_add_f64_e32 v[22:23], v[4:5], v[178:179]
	v_add_f64_e64 v[4:5], v[4:5], -v[178:179]
	v_fma_f64 v[192:193], v[16:17], v[36:37], -v[20:21]
	v_mul_f64_e32 v[16:17], v[16:17], v[38:39]
	v_add_f64_e32 v[20:21], v[30:31], v[2:3]
	v_add_f64_e64 v[2:3], v[30:31], -v[2:3]
	v_add_f64_e32 v[40:41], v[8:9], v[4:5]
	v_add_f64_e64 v[44:45], v[8:9], -v[4:5]
	v_add_f64_e64 v[4:5], v[4:5], -v[6:7]
	;; [unrolled: 1-line block ×3, first 2 shown]
	v_fma_f64 v[194:195], v[18:19], v[36:37], v[16:17]
	v_add_f64_e32 v[16:17], v[197:198], v[0:1]
	v_add_f64_e32 v[18:19], v[28:29], v[172:173]
	v_add_f64_e64 v[0:1], v[197:198], -v[0:1]
	v_add_f64_e32 v[38:39], v[10:11], v[2:3]
	v_add_f64_e64 v[42:43], v[10:11], -v[2:3]
	v_add_f64_e32 v[6:7], v[40:41], v[6:7]
	v_mul_f64_e32 v[40:41], s[10:11], v[4:5]
	v_add_f64_e32 v[28:29], v[20:21], v[16:17]
	v_add_f64_e32 v[30:31], v[22:23], v[18:19]
	v_add_f64_e64 v[34:35], v[20:21], -v[16:17]
	v_add_f64_e64 v[36:37], v[22:23], -v[18:19]
	;; [unrolled: 1-line block ×8, first 2 shown]
	v_add_f64_e32 v[0:1], v[38:39], v[0:1]
	v_add_f64_e32 v[24:25], v[24:25], v[28:29]
	;; [unrolled: 1-line block ×3, first 2 shown]
	v_mul_f64_e32 v[28:29], s[26:27], v[42:43]
	v_mul_f64_e32 v[30:31], s[26:27], v[44:45]
	;; [unrolled: 1-line block ×3, first 2 shown]
	v_add_f64_e32 v[120:121], v[12:13], v[24:25]
	v_add_f64_e32 v[122:123], v[14:15], v[26:27]
	v_mul_f64_e32 v[12:13], s[30:31], v[16:17]
	v_mul_f64_e32 v[14:15], s[30:31], v[18:19]
	;; [unrolled: 1-line block ×4, first 2 shown]
	v_fma_f64 v[2:3], v[2:3], s[28:29], -v[28:29]
	v_fma_f64 v[4:5], v[4:5], s[28:29], -v[30:31]
	v_fma_f64 v[24:25], v[24:25], s[24:25], v[120:121]
	v_fma_f64 v[26:27], v[26:27], s[24:25], v[122:123]
	;; [unrolled: 1-line block ×4, first 2 shown]
	v_fma_f64 v[16:17], v[34:35], s[18:19], -v[16:17]
	v_fma_f64 v[18:19], v[36:37], s[18:19], -v[18:19]
	;; [unrolled: 1-line block ×4, first 2 shown]
	v_fma_f64 v[34:35], v[10:11], s[16:17], v[28:29]
	v_fma_f64 v[10:11], v[10:11], s[22:23], v[38:39]
	;; [unrolled: 1-line block ×6, first 2 shown]
	v_add_f64_e64 v[38:39], v[248:249], -v[100:101]
	v_add_f64_e32 v[28:29], v[20:21], v[24:25]
	v_add_f64_e32 v[30:31], v[22:23], v[26:27]
	;; [unrolled: 1-line block ×6, first 2 shown]
	v_fma_f64 v[34:35], v[0:1], s[8:9], v[34:35]
	v_fma_f64 v[0:1], v[0:1], s[8:9], v[10:11]
	;; [unrolled: 1-line block ×4, first 2 shown]
	v_add_f64_e32 v[8:9], v[238:239], v[250:251]
	v_add_f64_e32 v[10:11], v[242:243], v[252:253]
	v_add_f64_e64 v[172:173], v[20:21], -v[4:5]
	v_add_f64_e32 v[174:175], v[2:3], v[22:23]
	v_add_f64_e64 v[180:181], v[22:23], -v[2:3]
	;; [unrolled: 2-line block ×3, first 2 shown]
	v_add_f64_e64 v[14:15], v[26:27], -v[0:1]
	v_add_f64_e32 v[22:23], v[0:1], v[26:27]
	v_add_f64_e32 v[0:1], v[240:241], v[254:255]
	;; [unrolled: 1-line block ×5, first 2 shown]
	v_add_f64_e64 v[20:21], v[24:25], -v[6:7]
	v_add_f64_e64 v[24:25], v[28:29], -v[36:37]
	v_add_f64_e32 v[26:27], v[34:35], v[30:31]
	v_add_f64_e64 v[4:5], v[240:241], -v[254:255]
	v_add_f64_e64 v[6:7], v[244:245], -v[32:33]
	;; [unrolled: 1-line block ×4, first 2 shown]
	v_add_f64_e32 v[32:33], v[102:103], v[246:247]
	v_add_f64_e32 v[34:35], v[100:101], v[248:249]
	v_add_f64_e64 v[36:37], v[246:247], -v[102:103]
	v_add_f64_e32 v[42:43], v[10:11], v[2:3]
	v_add_f64_e64 v[46:47], v[10:11], -v[2:3]
	;; [unrolled: 2-line block ×3, first 2 shown]
	v_add_f64_e64 v[57:58], v[28:29], -v[4:5]
	v_add_f64_e32 v[51:52], v[38:39], v[30:31]
	v_add_f64_e64 v[0:1], v[0:1], -v[32:33]
	v_add_f64_e64 v[2:3], v[2:3], -v[34:35]
	;; [unrolled: 1-line block ×4, first 2 shown]
	v_add_f64_e32 v[49:50], v[36:37], v[28:29]
	v_add_f64_e64 v[53:54], v[36:37], -v[28:29]
	v_add_f64_e64 v[55:56], v[38:39], -v[30:31]
	;; [unrolled: 1-line block ×5, first 2 shown]
	v_add_f64_e32 v[34:35], v[34:35], v[42:43]
	v_add_f64_e32 v[32:33], v[32:33], v[40:41]
	;; [unrolled: 1-line block ×3, first 2 shown]
	v_mul_f64_e32 v[0:1], s[30:31], v[0:1]
	v_mul_f64_e32 v[2:3], s[30:31], v[2:3]
	;; [unrolled: 1-line block ×4, first 2 shown]
	v_add_f64_e32 v[4:5], v[49:50], v[4:5]
	v_mul_f64_e32 v[49:50], s[26:27], v[53:54]
	v_mul_f64_e32 v[51:52], s[26:27], v[55:56]
	v_mul_f64_e32 v[53:54], s[10:11], v[57:58]
	v_mul_f64_e32 v[55:56], s[10:11], v[59:60]
	v_add_f64_e32 v[30:31], v[236:237], v[34:35]
	v_add_f64_e32 v[28:29], v[234:235], v[32:33]
	v_fma_f64 v[8:9], v[8:9], s[14:15], v[0:1]
	v_fma_f64 v[10:11], v[10:11], s[14:15], v[2:3]
	v_fma_f64 v[40:41], v[44:45], s[18:19], -v[40:41]
	v_fma_f64 v[42:43], v[46:47], s[18:19], -v[42:43]
	;; [unrolled: 1-line block ×4, first 2 shown]
	v_fma_f64 v[44:45], v[36:37], s[16:17], v[49:50]
	v_fma_f64 v[46:47], v[38:39], s[16:17], v[51:52]
	v_fma_f64 v[49:50], v[57:58], s[28:29], -v[49:50]
	v_fma_f64 v[51:52], v[59:60], s[28:29], -v[51:52]
	v_fma_f64 v[36:37], v[36:37], s[22:23], v[53:54]
	v_fma_f64 v[38:39], v[38:39], s[22:23], v[55:56]
	v_add_f64_e32 v[60:61], v[214:215], v[224:225]
	v_fma_f64 v[34:35], v[34:35], s[24:25], v[30:31]
	v_fma_f64 v[32:33], v[32:33], s[24:25], v[28:29]
	;; [unrolled: 1-line block ×4, first 2 shown]
	s_delay_alu instid0(VALU_DEP_4)
	v_add_f64_e32 v[10:11], v[10:11], v[34:35]
	v_add_f64_e32 v[55:56], v[42:43], v[34:35]
	;; [unrolled: 1-line block ×3, first 2 shown]
	v_fma_f64 v[34:35], v[6:7], s[8:9], v[46:47]
	v_add_f64_e32 v[8:9], v[8:9], v[32:33]
	v_add_f64_e32 v[53:54], v[40:41], v[32:33]
	;; [unrolled: 1-line block ×3, first 2 shown]
	v_fma_f64 v[32:33], v[4:5], s[8:9], v[44:45]
	v_fma_f64 v[4:5], v[4:5], s[8:9], v[36:37]
	;; [unrolled: 1-line block ×3, first 2 shown]
	v_add_f64_e32 v[46:47], v[49:50], v[55:56]
	v_add_f64_e64 v[236:237], v[55:56], -v[49:50]
	v_add_f64_e32 v[49:50], v[202:203], v[222:223]
	v_add_f64_e32 v[40:41], v[34:35], v[8:9]
	v_add_f64_e64 v[44:45], v[53:54], -v[51:52]
	v_add_f64_e32 v[234:235], v[51:52], v[53:54]
	v_add_f64_e64 v[42:43], v[10:11], -v[32:33]
	v_add_f64_e64 v[38:39], v[2:3], -v[4:5]
	v_add_f64_e32 v[36:37], v[6:7], v[0:1]
	v_add_f64_e64 v[52:53], v[0:1], -v[6:7]
	v_add_f64_e32 v[54:55], v[4:5], v[2:3]
	;; [unrolled: 2-line block ×3, first 2 shown]
	v_add_f64_e32 v[0:1], v[218:219], v[230:231]
	v_add_f64_e32 v[2:3], v[220:221], v[232:233]
	;; [unrolled: 1-line block ×4, first 2 shown]
	v_add_f64_e64 v[4:5], v[218:219], -v[230:231]
	v_add_f64_e64 v[6:7], v[220:221], -v[232:233]
	v_add_f64_e64 v[32:33], v[204:205], -v[226:227]
	v_add_f64_e64 v[34:35], v[216:217], -v[228:229]
	v_add_f64_e32 v[66:67], v[8:9], v[0:1]
	v_add_f64_e32 v[68:69], v[10:11], v[2:3]
	v_add_f64_e64 v[70:71], v[8:9], -v[0:1]
	v_add_f64_e64 v[72:73], v[10:11], -v[2:3]
	;; [unrolled: 1-line block ×6, first 2 shown]
	v_add_f64_e32 v[74:75], v[62:63], v[32:33]
	v_add_f64_e32 v[76:77], v[64:65], v[34:35]
	v_add_f64_e64 v[78:79], v[62:63], -v[32:33]
	v_add_f64_e64 v[80:81], v[64:65], -v[34:35]
	;; [unrolled: 1-line block ×6, first 2 shown]
	v_add_f64_e32 v[49:50], v[49:50], v[66:67]
	v_add_f64_e32 v[60:61], v[60:61], v[68:69]
	v_mul_f64_e32 v[0:1], s[30:31], v[0:1]
	v_mul_f64_e32 v[2:3], s[30:31], v[2:3]
	;; [unrolled: 1-line block ×4, first 2 shown]
	v_add_f64_e32 v[4:5], v[74:75], v[4:5]
	v_add_f64_e32 v[6:7], v[76:77], v[6:7]
	v_mul_f64_e32 v[74:75], s[26:27], v[78:79]
	v_mul_f64_e32 v[76:77], s[26:27], v[80:81]
	;; [unrolled: 1-line block ×4, first 2 shown]
	v_add_f64_e32 v[32:33], v[210:211], v[49:50]
	v_add_f64_e32 v[34:35], v[212:213], v[60:61]
	v_fma_f64 v[8:9], v[8:9], s[14:15], v[0:1]
	v_fma_f64 v[10:11], v[10:11], s[14:15], v[2:3]
	v_fma_f64 v[66:67], v[70:71], s[18:19], -v[66:67]
	v_fma_f64 v[68:69], v[72:73], s[18:19], -v[68:69]
	;; [unrolled: 1-line block ×4, first 2 shown]
	v_fma_f64 v[70:71], v[62:63], s[16:17], v[74:75]
	v_fma_f64 v[72:73], v[64:65], s[16:17], v[76:77]
	v_fma_f64 v[74:75], v[82:83], s[28:29], -v[74:75]
	v_fma_f64 v[76:77], v[84:85], s[28:29], -v[76:77]
	v_fma_f64 v[62:63], v[62:63], s[22:23], v[78:79]
	v_fma_f64 v[64:65], v[64:65], s[22:23], v[80:81]
	v_add_f64_e64 v[84:85], v[116:117], -v[104:105]
	v_fma_f64 v[49:50], v[49:50], s[24:25], v[32:33]
	v_fma_f64 v[60:61], v[60:61], s[24:25], v[34:35]
	v_fma_f64 v[82:83], v[6:7], s[8:9], v[72:73]
	v_fma_f64 v[74:75], v[4:5], s[8:9], v[74:75]
	v_fma_f64 v[72:73], v[6:7], s[8:9], v[76:77]
	v_fma_f64 v[6:7], v[6:7], s[8:9], v[64:65]
	v_add_f64_e64 v[108:109], v[92:93], -v[84:85]
	v_add_f64_e32 v[8:9], v[8:9], v[49:50]
	v_add_f64_e32 v[10:11], v[10:11], v[60:61]
	;; [unrolled: 1-line block ×6, first 2 shown]
	v_fma_f64 v[49:50], v[4:5], s[8:9], v[70:71]
	v_fma_f64 v[4:5], v[4:5], s[8:9], v[62:63]
	v_mul_f64_e32 v[108:109], s[26:27], v[108:109]
	v_add_f64_e32 v[64:65], v[82:83], v[8:9]
	v_add_f64_e64 v[68:69], v[78:79], -v[72:73]
	v_add_f64_e32 v[70:71], v[74:75], v[80:81]
	v_add_f64_e32 v[60:61], v[6:7], v[0:1]
	;; [unrolled: 1-line block ×3, first 2 shown]
	v_add_f64_e64 v[66:67], v[10:11], -v[49:50]
	v_add_f64_e64 v[62:63], v[2:3], -v[4:5]
	;; [unrolled: 1-line block ×4, first 2 shown]
	v_add_f64_e32 v[78:79], v[4:5], v[2:3]
	v_add_f64_e64 v[80:81], v[8:9], -v[82:83]
	v_add_f64_e32 v[82:83], v[49:50], v[10:11]
	v_add_f64_e32 v[0:1], v[126:127], v[106:107]
	;; [unrolled: 1-line block ×5, first 2 shown]
	v_add_f64_e64 v[4:5], v[126:127], -v[106:107]
	v_add_f64_e64 v[6:7], v[124:125], -v[96:97]
	v_add_f64_e64 v[49:50], v[128:129], -v[110:111]
	v_add_f64_e64 v[124:125], v[130:131], -v[152:153]
	v_add_f64_e32 v[116:117], v[152:153], v[130:131]
	v_add_f64_e64 v[152:153], v[160:161], -v[186:187]
	v_add_f64_e32 v[94:95], v[8:9], v[0:1]
	v_add_f64_e32 v[96:97], v[10:11], v[2:3]
	v_add_f64_e64 v[98:99], v[8:9], -v[0:1]
	v_add_f64_e64 v[100:101], v[10:11], -v[2:3]
	v_add_f64_e64 v[0:1], v[0:1], -v[86:87]
	v_add_f64_e64 v[2:3], v[2:3], -v[88:89]
	v_add_f64_e64 v[102:103], v[86:87], -v[8:9]
	v_add_f64_e64 v[104:105], v[88:89], -v[10:11]
	v_add_f64_e32 v[8:9], v[90:91], v[49:50]
	v_add_f64_e32 v[10:11], v[92:93], v[84:85]
	v_add_f64_e64 v[106:107], v[90:91], -v[49:50]
	v_add_f64_e64 v[49:50], v[49:50], -v[4:5]
	;; [unrolled: 1-line block ×5, first 2 shown]
	v_add_f64_e32 v[86:87], v[86:87], v[94:95]
	v_add_f64_e32 v[88:89], v[88:89], v[96:97]
	v_mul_f64_e32 v[0:1], s[30:31], v[0:1]
	v_mul_f64_e32 v[2:3], s[30:31], v[2:3]
	v_mul_f64_e32 v[94:95], s[14:15], v[102:103]
	v_mul_f64_e32 v[96:97], s[14:15], v[104:105]
	v_add_f64_e32 v[4:5], v[8:9], v[4:5]
	v_add_f64_e32 v[6:7], v[10:11], v[6:7]
	v_mul_f64_e32 v[106:107], s[26:27], v[106:107]
	v_mul_f64_e32 v[110:111], s[10:11], v[49:50]
	;; [unrolled: 1-line block ×3, first 2 shown]
	v_fma_f64 v[84:85], v[84:85], s[28:29], -v[108:109]
	v_add_f64_e32 v[8:9], v[206:207], v[86:87]
	v_add_f64_e32 v[10:11], v[208:209], v[88:89]
	v_fma_f64 v[102:103], v[102:103], s[14:15], v[0:1]
	v_fma_f64 v[104:105], v[104:105], s[14:15], v[2:3]
	v_fma_f64 v[94:95], v[98:99], s[18:19], -v[94:95]
	v_fma_f64 v[96:97], v[100:101], s[18:19], -v[96:97]
	;; [unrolled: 1-line block ×4, first 2 shown]
	v_fma_f64 v[98:99], v[90:91], s[16:17], v[106:107]
	v_fma_f64 v[100:101], v[92:93], s[16:17], v[108:109]
	v_fma_f64 v[49:50], v[49:50], s[28:29], -v[106:107]
	v_fma_f64 v[90:91], v[90:91], s[22:23], v[110:111]
	v_fma_f64 v[92:93], v[92:93], s[22:23], v[112:113]
	v_fma_f64 v[86:87], v[86:87], s[24:25], v[8:9]
	v_fma_f64 v[88:89], v[88:89], s[24:25], v[10:11]
	v_fma_f64 v[112:113], v[4:5], s[8:9], v[98:99]
	v_fma_f64 v[100:101], v[6:7], s[8:9], v[100:101]
	v_fma_f64 v[49:50], v[4:5], s[8:9], v[49:50]
	v_fma_f64 v[4:5], v[4:5], s[8:9], v[90:91]
	v_add_f64_e32 v[102:103], v[102:103], v[86:87]
	v_add_f64_e32 v[110:111], v[104:105], v[88:89]
	;; [unrolled: 1-line block ×6, first 2 shown]
	v_fma_f64 v[96:97], v[6:7], s[8:9], v[84:85]
	v_fma_f64 v[6:7], v[6:7], s[8:9], v[92:93]
	v_add_f64_e32 v[88:89], v[100:101], v[102:103]
	v_add_f64_e64 v[90:91], v[110:111], -v[112:113]
	v_add_f64_e64 v[108:109], v[102:103], -v[100:101]
	v_add_f64_e32 v[94:95], v[49:50], v[106:107]
	v_add_f64_e64 v[98:99], v[106:107], -v[49:50]
	v_add_f64_e64 v[86:87], v[2:3], -v[4:5]
	;; [unrolled: 1-line block ×3, first 2 shown]
	v_add_f64_e32 v[84:85], v[6:7], v[0:1]
	v_add_f64_e32 v[96:97], v[96:97], v[104:105]
	v_add_f64_e64 v[104:105], v[0:1], -v[6:7]
	v_add_f64_e32 v[106:107], v[4:5], v[2:3]
	v_add_f64_e32 v[110:111], v[112:113], v[110:111]
	;; [unrolled: 1-line block ×6, first 2 shown]
	v_add_f64_e64 v[102:103], v[150:151], -v[136:137]
	v_add_f64_e64 v[112:113], v[148:149], -v[138:139]
	;; [unrolled: 1-line block ×4, first 2 shown]
	v_add_f64_e32 v[148:149], v[186:187], v[160:161]
	v_add_f64_e32 v[150:151], v[184:185], v[162:163]
	;; [unrolled: 1-line block ×6, first 2 shown]
	v_add_f64_e64 v[130:131], v[49:50], -v[0:1]
	v_add_f64_e64 v[133:134], v[100:101], -v[2:3]
	;; [unrolled: 1-line block ×12, first 2 shown]
	v_add_f64_e32 v[114:115], v[114:115], v[126:127]
	v_add_f64_e32 v[116:117], v[116:117], v[128:129]
	v_add_f64_e32 v[126:127], v[136:137], v[4:5]
	v_add_f64_e32 v[128:129], v[138:139], v[6:7]
	scratch_load_b128 v[4:7], off, off offset:1168 th:TH_LOAD_LU ; 16-byte Folded Reload
	v_mul_f64_e32 v[0:1], s[30:31], v[0:1]
	v_mul_f64_e32 v[2:3], s[30:31], v[2:3]
	;; [unrolled: 1-line block ×8, first 2 shown]
	v_fma_f64 v[49:50], v[49:50], s[14:15], v[0:1]
	v_fma_f64 v[100:101], v[100:101], s[14:15], v[2:3]
	v_fma_f64 v[136:137], v[130:131], s[18:19], -v[136:137]
	v_fma_f64 v[138:139], v[133:134], s[18:19], -v[138:139]
	;; [unrolled: 1-line block ×4, first 2 shown]
	v_fma_f64 v[130:131], v[118:119], s[16:17], v[140:141]
	v_fma_f64 v[133:134], v[124:125], s[16:17], v[142:143]
	v_fma_f64 v[102:103], v[102:103], s[28:29], -v[140:141]
	v_fma_f64 v[112:113], v[112:113], s[28:29], -v[142:143]
	v_fma_f64 v[118:119], v[118:119], s[22:23], v[144:145]
	v_fma_f64 v[124:125], v[124:125], s[22:23], v[146:147]
	;; [unrolled: 1-line block ×8, first 2 shown]
	s_wait_loadcnt 0x0
	v_add_f64_e32 v[4:5], v[4:5], v[114:115]
	v_add_f64_e32 v[6:7], v[6:7], v[116:117]
	s_delay_alu instid0(VALU_DEP_2) | instskip(NEXT) | instid1(VALU_DEP_2)
	v_fma_f64 v[114:115], v[114:115], s[24:25], v[4:5]
	v_fma_f64 v[116:117], v[116:117], s[24:25], v[6:7]
	s_delay_alu instid0(VALU_DEP_2) | instskip(NEXT) | instid1(VALU_DEP_2)
	v_add_f64_e32 v[49:50], v[49:50], v[114:115]
	v_add_f64_e32 v[100:101], v[100:101], v[116:117]
	;; [unrolled: 1-line block ×7, first 2 shown]
	v_add_f64_e64 v[118:119], v[100:101], -v[140:141]
	v_add_f64_e64 v[124:125], v[136:137], -v[130:131]
	v_add_f64_e32 v[126:127], v[102:103], v[138:139]
	v_add_f64_e32 v[112:113], v[144:145], v[0:1]
	v_add_f64_e64 v[114:115], v[2:3], -v[142:143]
	v_add_f64_e32 v[128:129], v[130:131], v[136:137]
	v_add_f64_e64 v[130:131], v[138:139], -v[102:103]
	v_add_f64_e64 v[136:137], v[0:1], -v[144:145]
	v_add_f64_e32 v[138:139], v[142:143], v[2:3]
	v_add_f64_e64 v[144:145], v[49:50], -v[133:134]
	v_add_f64_e32 v[146:147], v[140:141], v[100:101]
	v_add_f64_e32 v[0:1], v[176:177], v[168:169]
	v_add_f64_e32 v[2:3], v[158:159], v[170:171]
	v_add_f64_e32 v[102:103], v[182:183], v[164:165]
	v_add_f64_e32 v[133:134], v[156:157], v[166:167]
	v_add_f64_e64 v[140:141], v[182:183], -v[164:165]
	v_add_f64_e64 v[142:143], v[156:157], -v[166:167]
	;; [unrolled: 1-line block ×6, first 2 shown]
	v_add_f64_e32 v[156:157], v[102:103], v[0:1]
	v_add_f64_e32 v[158:159], v[133:134], v[2:3]
	v_add_f64_e64 v[160:161], v[102:103], -v[0:1]
	v_add_f64_e64 v[162:163], v[133:134], -v[2:3]
	v_add_f64_e32 v[0:1], v[152:153], v[140:141]
	v_add_f64_e32 v[2:3], v[154:155], v[142:143]
	v_add_f64_e64 v[168:169], v[152:153], -v[140:141]
	v_add_f64_e64 v[170:171], v[154:155], -v[142:143]
	;; [unrolled: 1-line block ×8, first 2 shown]
	v_add_f64_e32 v[148:149], v[148:149], v[156:157]
	v_add_f64_e32 v[150:151], v[150:151], v[158:159]
	v_mul_f64_e32 v[156:157], s[30:31], v[164:165]
	v_mul_f64_e32 v[158:159], s[30:31], v[166:167]
	v_add_f64_e32 v[49:50], v[0:1], v[49:50]
	v_add_f64_e32 v[100:101], v[2:3], v[100:101]
	scratch_load_b128 v[0:3], off, off offset:1036 th:TH_LOAD_LU ; 16-byte Folded Reload
	v_mul_f64_e32 v[168:169], s[26:27], v[168:169]
	v_mul_f64_e32 v[170:171], s[26:27], v[170:171]
	;; [unrolled: 1-line block ×6, first 2 shown]
	v_fma_f64 v[102:103], v[102:103], s[14:15], v[156:157]
	v_fma_f64 v[133:134], v[133:134], s[14:15], v[158:159]
	v_fma_f64 v[156:157], v[160:161], s[20:21], -v[156:157]
	v_fma_f64 v[158:159], v[162:163], s[20:21], -v[158:159]
	;; [unrolled: 1-line block ×6, first 2 shown]
	v_fma_f64 v[160:161], v[152:153], s[16:17], v[168:169]
	v_fma_f64 v[162:163], v[154:155], s[16:17], v[170:171]
	;; [unrolled: 1-line block ×10, first 2 shown]
	s_wait_loadcnt 0x0
	v_add_f64_e32 v[0:1], v[0:1], v[148:149]
	v_add_f64_e32 v[2:3], v[2:3], v[150:151]
	s_delay_alu instid0(VALU_DEP_2) | instskip(NEXT) | instid1(VALU_DEP_2)
	v_fma_f64 v[148:149], v[148:149], s[24:25], v[0:1]
	v_fma_f64 v[150:151], v[150:151], s[24:25], v[2:3]
	s_delay_alu instid0(VALU_DEP_2) | instskip(NEXT) | instid1(VALU_DEP_2)
	v_add_f64_e32 v[102:103], v[102:103], v[148:149]
	v_add_f64_e32 v[133:134], v[133:134], v[150:151]
	;; [unrolled: 1-line block ×7, first 2 shown]
	v_add_f64_e64 v[154:155], v[133:134], -v[176:177]
	v_add_f64_e64 v[156:157], v[164:165], -v[142:143]
	v_add_f64_e32 v[158:159], v[140:141], v[166:167]
	v_add_f64_e32 v[148:149], v[100:101], v[168:169]
	v_add_f64_e64 v[150:151], v[170:171], -v[49:50]
	v_add_f64_e32 v[160:161], v[142:143], v[164:165]
	v_add_f64_e64 v[162:163], v[166:167], -v[140:141]
	v_add_f64_e64 v[164:165], v[168:169], -v[100:101]
	v_add_f64_e32 v[166:167], v[49:50], v[170:171]
	v_add_f64_e64 v[168:169], v[102:103], -v[182:183]
	v_add_f64_e32 v[170:171], v[176:177], v[133:134]
	s_clause 0x3
	scratch_load_b64 v[102:103], off, off offset:1264 th:TH_LOAD_LU
	scratch_load_b64 v[182:183], off, off offset:1216 th:TH_LOAD_LU
	;; [unrolled: 1-line block ×4, first 2 shown]
	s_wait_loadcnt 0x3
	v_add_f64_e32 v[49:50], v[102:103], v[192:193]
	v_add_f64_e64 v[102:103], v[102:103], -v[192:193]
	s_wait_loadcnt 0x2
	v_add_f64_e32 v[142:143], v[182:183], v[190:191]
	s_wait_loadcnt 0x0
	v_add_f64_e32 v[140:141], v[176:177], v[188:189]
	v_add_f64_e64 v[176:177], v[176:177], -v[188:189]
	v_add_f64_e64 v[182:183], v[182:183], -v[190:191]
	s_clause 0x2
	scratch_load_b64 v[188:189], off, off offset:1232 th:TH_LOAD_LU
	scratch_load_b64 v[190:191], off, off offset:1184 th:TH_LOAD_LU
	;; [unrolled: 1-line block ×3, first 2 shown]
	v_add_f64_e32 v[100:101], v[133:134], v[194:195]
	v_add_f64_e64 v[133:134], v[133:134], -v[194:195]
	v_add_f64_e64 v[197:198], v[140:141], -v[49:50]
	s_delay_alu instid0(VALU_DEP_3)
	v_add_f64_e32 v[194:195], v[142:143], v[100:101]
	s_wait_loadcnt 0x2
	v_add_f64_e32 v[184:185], v[199:200], v[188:189]
	s_wait_loadcnt 0x0
	v_add_f64_e32 v[186:187], v[190:191], v[192:193]
	v_add_f64_e64 v[188:189], v[188:189], -v[199:200]
	v_add_f64_e64 v[190:191], v[192:193], -v[190:191]
	v_add_f64_e32 v[192:193], v[140:141], v[49:50]
	v_add_f64_e64 v[199:200], v[142:143], -v[100:101]
	v_add_f64_e64 v[49:50], v[49:50], -v[184:185]
	v_add_f64_e64 v[202:203], v[100:101], -v[186:187]
	v_add_f64_e32 v[100:101], v[188:189], v[176:177]
	v_add_f64_e64 v[140:141], v[184:185], -v[140:141]
	v_add_f64_e64 v[206:207], v[188:189], -v[176:177]
	;; [unrolled: 1-line block ×4, first 2 shown]
	v_add_f64_e32 v[184:185], v[184:185], v[192:193]
	v_add_f64_e64 v[142:143], v[186:187], -v[142:143]
	v_add_f64_e32 v[204:205], v[190:191], v[182:183]
	v_add_f64_e64 v[208:209], v[190:191], -v[182:183]
	v_add_f64_e64 v[182:183], v[182:183], -v[133:134]
	;; [unrolled: 1-line block ×3, first 2 shown]
	v_add_f64_e32 v[186:187], v[186:187], v[194:195]
	v_mul_f64_e32 v[49:50], s[30:31], v[49:50]
	v_mul_f64_e32 v[194:195], s[30:31], v[202:203]
	v_add_f64_e32 v[192:193], v[100:101], v[102:103]
	scratch_load_b128 v[100:103], off, off offset:908 th:TH_LOAD_LU ; 16-byte Folded Reload
	v_mul_f64_e32 v[202:203], s[14:15], v[140:141]
	v_mul_f64_e32 v[206:207], s[26:27], v[206:207]
	;; [unrolled: 1-line block ×3, first 2 shown]
	global_wb scope:SCOPE_SE
	s_wait_loadcnt 0x0
	s_wait_storecnt 0x0
	s_barrier_signal -1
	v_add_f64_e32 v[133:134], v[204:205], v[133:134]
	v_mul_f64_e32 v[204:205], s[14:15], v[142:143]
	v_mul_f64_e32 v[208:209], s[26:27], v[208:209]
	;; [unrolled: 1-line block ×3, first 2 shown]
	s_barrier_wait -1
	global_inv scope:SCOPE_SE
	v_fma_f64 v[140:141], v[140:141], s[14:15], v[49:50]
	v_fma_f64 v[142:143], v[142:143], s[14:15], v[194:195]
	v_fma_f64 v[49:50], v[197:198], s[20:21], -v[49:50]
	v_fma_f64 v[194:195], v[199:200], s[20:21], -v[194:195]
	;; [unrolled: 1-line block ×3, first 2 shown]
	v_fma_f64 v[197:198], v[188:189], s[16:17], v[206:207]
	v_fma_f64 v[188:189], v[188:189], s[22:23], v[210:211]
	v_fma_f64 v[176:177], v[176:177], s[28:29], -v[206:207]
	v_fma_f64 v[204:205], v[199:200], s[18:19], -v[204:205]
	v_fma_f64 v[199:200], v[190:191], s[16:17], v[208:209]
	v_fma_f64 v[182:183], v[182:183], s[28:29], -v[208:209]
	v_fma_f64 v[190:191], v[190:191], s[22:23], v[212:213]
	v_fma_f64 v[210:211], v[192:193], s[8:9], v[197:198]
	v_fma_f64 v[176:177], v[192:193], s[8:9], v[176:177]
	v_fma_f64 v[212:213], v[133:134], s[8:9], v[199:200]
	v_fma_f64 v[197:198], v[133:134], s[8:9], v[182:183]
	v_fma_f64 v[133:134], v[133:134], s[8:9], v[190:191]
	v_fma_f64 v[199:200], v[192:193], s[8:9], v[188:189]
	v_add_f64_e32 v[100:101], v[100:101], v[184:185]
	v_add_f64_e32 v[102:103], v[102:103], v[186:187]
	s_delay_alu instid0(VALU_DEP_2) | instskip(NEXT) | instid1(VALU_DEP_2)
	v_fma_f64 v[184:185], v[184:185], s[24:25], v[100:101]
	v_fma_f64 v[186:187], v[186:187], s[24:25], v[102:103]
	s_delay_alu instid0(VALU_DEP_2) | instskip(SKIP_1) | instid1(VALU_DEP_3)
	v_add_f64_e32 v[202:203], v[202:203], v[184:185]
	v_add_f64_e32 v[49:50], v[49:50], v[184:185]
	v_add_f64_e32 v[208:209], v[142:143], v[186:187]
	v_add_f64_e32 v[204:205], v[204:205], v[186:187]
	v_add_f64_e32 v[194:195], v[194:195], v[186:187]
	v_add_f64_e32 v[206:207], v[140:141], v[184:185]
	v_add_f64_e64 v[186:187], v[202:203], -v[197:198]
	v_add_f64_e32 v[182:183], v[133:134], v[49:50]
	v_add_f64_e32 v[190:191], v[197:198], v[202:203]
	v_add_f64_e64 v[197:198], v[49:50], -v[133:134]
	s_clause 0x1
	scratch_load_b32 v49, off, off offset:940 th:TH_LOAD_LU
	scratch_load_b32 v50, off, off offset:972 th:TH_LOAD_LU
	v_add_f64_e32 v[140:141], v[212:213], v[206:207]
	v_add_f64_e64 v[142:143], v[208:209], -v[210:211]
	v_add_f64_e64 v[184:185], v[194:195], -v[199:200]
	v_add_f64_e32 v[188:189], v[176:177], v[204:205]
	v_add_f64_e64 v[192:193], v[204:205], -v[176:177]
	v_add_f64_e32 v[199:200], v[199:200], v[194:195]
	;; [unrolled: 2-line block ×3, first 2 shown]
	s_wait_loadcnt 0x1
	v_and_b32_e32 v49, 0xffff, v49
	s_delay_alu instid0(VALU_DEP_1) | instskip(SKIP_1) | instid1(VALU_DEP_1)
	v_mul_u32_u24_e32 v49, 49, v49
	s_wait_loadcnt 0x0
	v_add_lshl_u32 v49, v49, v50, 4
	scratch_store_b32 off, v49, off offset:2764 ; 4-byte Folded Spill
	ds_store_b128 v49, v[120:123]
	ds_store_b128 v49, v[16:19] offset:112
	ds_store_b128 v49, v[12:15] offset:224
	ds_store_b128 v49, v[172:175] offset:336
	ds_store_b128 v49, v[178:181] offset:448
	ds_store_b128 v49, v[20:23] offset:560
	ds_store_b128 v49, v[24:27] offset:672
	s_clause 0x1
	scratch_load_b32 v12, off, off offset:1004 th:TH_LOAD_LU
	scratch_load_b32 v13, off, off offset:1020 th:TH_LOAD_LU
	s_wait_loadcnt 0x1
	v_and_b32_e32 v12, 0xffff, v12
	s_delay_alu instid0(VALU_DEP_1) | instskip(SKIP_1) | instid1(VALU_DEP_1)
	v_mul_u32_u24_e32 v12, 49, v12
	s_wait_loadcnt 0x0
	v_add_lshl_u32 v12, v12, v13, 4
	scratch_store_b32 off, v12, off offset:2756 ; 4-byte Folded Spill
	ds_store_b128 v12, v[28:31]
	ds_store_b128 v12, v[40:43] offset:112
	ds_store_b128 v12, v[36:39] offset:224
	ds_store_b128 v12, v[44:47] offset:336
	ds_store_b128 v12, v[234:237] offset:448
	ds_store_b128 v12, v[52:55] offset:560
	ds_store_b128 v12, v[56:59] offset:672
	s_clause 0x1
	scratch_load_b32 v12, off, off offset:1052 th:TH_LOAD_LU
	scratch_load_b32 v13, off, off offset:1068 th:TH_LOAD_LU
	s_wait_loadcnt 0x1
	v_and_b32_e32 v12, 0xffff, v12
	s_delay_alu instid0(VALU_DEP_1) | instskip(SKIP_1) | instid1(VALU_DEP_1)
	v_mul_u32_u24_e32 v12, 49, v12
	s_wait_loadcnt 0x0
	v_add_lshl_u32 v12, v12, v13, 4
	scratch_store_b32 off, v12, off offset:2748 ; 4-byte Folded Spill
	ds_store_b128 v12, v[32:35]
	ds_store_b128 v12, v[64:67] offset:112
	ds_store_b128 v12, v[60:63] offset:224
	ds_store_b128 v12, v[68:71] offset:336
	ds_store_b128 v12, v[72:75] offset:448
	ds_store_b128 v12, v[76:79] offset:560
	ds_store_b128 v12, v[80:83] offset:672
	s_clause 0x1
	scratch_load_b32 v12, off, off offset:1084 th:TH_LOAD_LU
	scratch_load_b32 v13, off, off offset:1100 th:TH_LOAD_LU
	s_wait_loadcnt 0x1
	v_and_b32_e32 v12, 0xffff, v12
	s_delay_alu instid0(VALU_DEP_1) | instskip(SKIP_1) | instid1(VALU_DEP_1)
	v_mul_u32_u24_e32 v12, 49, v12
	s_wait_loadcnt 0x0
	v_add_lshl_u32 v12, v12, v13, 4
	scratch_store_b32 off, v12, off offset:2644 ; 4-byte Folded Spill
	ds_store_b128 v12, v[8:11]
	ds_store_b128 v12, v[88:91] offset:112
	ds_store_b128 v12, v[84:87] offset:224
	ds_store_b128 v12, v[92:95] offset:336
	ds_store_b128 v12, v[96:99] offset:448
	ds_store_b128 v12, v[104:107] offset:560
	ds_store_b128 v12, v[108:111] offset:672
	s_clause 0x1
	scratch_load_b32 v8, off, off offset:1120 th:TH_LOAD_LU
	scratch_load_b32 v9, off, off offset:1136 th:TH_LOAD_LU
	s_wait_loadcnt 0x1
	v_and_b32_e32 v8, 0xffff, v8
	s_delay_alu instid0(VALU_DEP_1) | instskip(SKIP_1) | instid1(VALU_DEP_1)
	v_mul_u32_u24_e32 v8, 49, v8
	s_wait_loadcnt 0x0
	v_add_lshl_u32 v8, v8, v9, 4
	scratch_store_b32 off, v8, off offset:2340 ; 4-byte Folded Spill
	ds_store_b128 v8, v[4:7]
	ds_store_b128 v8, v[116:119] offset:112
	ds_store_b128 v8, v[112:115] offset:224
	;; [unrolled: 1-line block ×6, first 2 shown]
	scratch_load_b32 v4, off, off offset:1152 th:TH_LOAD_LU ; 4-byte Folded Reload
	s_wait_loadcnt 0x0
	v_mad_u16 v4, v4, 49, v132
	s_delay_alu instid0(VALU_DEP_1) | instskip(NEXT) | instid1(VALU_DEP_1)
	v_and_b32_e32 v4, 0xffff, v4
	v_lshlrev_b32_e32 v4, 4, v4
	scratch_store_b32 off, v4, off offset:1656 ; 4-byte Folded Spill
	ds_store_b128 v4, v[0:3]
	ds_store_b128 v4, v[152:155] offset:112
	ds_store_b128 v4, v[148:151] offset:224
	;; [unrolled: 1-line block ×6, first 2 shown]
	v_mad_u16 v0, v135, 49, v48
	s_delay_alu instid0(VALU_DEP_1) | instskip(NEXT) | instid1(VALU_DEP_1)
	v_and_b32_e32 v0, 0xffff, v0
	v_lshlrev_b32_e32 v0, 4, v0
	scratch_store_b32 off, v0, off offset:940 ; 4-byte Folded Spill
	ds_store_b128 v0, v[100:103]
	ds_store_b128 v0, v[140:143] offset:112
	ds_store_b128 v0, v[182:185] offset:224
	ds_store_b128 v0, v[186:189] offset:336
	ds_store_b128 v0, v[190:193] offset:448
	ds_store_b128 v0, v[197:200] offset:560
	ds_store_b128 v0, v[202:205] offset:672
	global_wb scope:SCOPE_SE
	s_wait_storecnt_dscnt 0x0
	s_barrier_signal -1
	s_barrier_wait -1
	global_inv scope:SCOPE_SE
	ds_load_b128 v[16:19], v196
	ds_load_b128 v[192:195], v196 offset:5488
	ds_load_b128 v[188:191], v196 offset:10976
	ds_load_b128 v[184:187], v196 offset:16464
	ds_load_b128 v[180:183], v196 offset:21952
	ds_load_b128 v[176:179], v196 offset:27440
	ds_load_b128 v[172:175], v196 offset:32928
	ds_load_b128 v[36:39], v196 offset:784
	ds_load_b128 v[168:171], v196 offset:6272
	ds_load_b128 v[164:167], v196 offset:11760
	ds_load_b128 v[160:163], v196 offset:17248
	ds_load_b128 v[156:159], v196 offset:22736
	ds_load_b128 v[152:155], v196 offset:28224
	ds_load_b128 v[148:151], v196 offset:33712
	ds_load_b128 v[252:255], v196 offset:1568
	ds_load_b128 v[144:147], v196 offset:7056
	ds_load_b128 v[140:143], v196 offset:12544
	ds_load_b128 v[136:139], v196 offset:18032
	ds_load_b128 v[132:135], v196 offset:23520
	ds_load_b128 v[128:131], v196 offset:29008
	ds_load_b128 v[124:127], v196 offset:34496
	ds_load_b128 v[197:200], v196 offset:2352
	ds_load_b128 v[120:123], v196 offset:7840
	ds_load_b128 v[116:119], v196 offset:13328
	ds_load_b128 v[112:115], v196 offset:18816
	ds_load_b128 v[108:111], v196 offset:24304
	ds_load_b128 v[104:107], v196 offset:29792
	ds_load_b128 v[100:103], v196 offset:35280
	ds_load_b128 v[204:207], v196 offset:3136
	ds_load_b128 v[96:99], v196 offset:8624
	ds_load_b128 v[92:95], v196 offset:14112
	ds_load_b128 v[88:91], v196 offset:19600
	ds_load_b128 v[84:87], v196 offset:25088
	ds_load_b128 v[80:83], v196 offset:30576
	ds_load_b128 v[76:79], v196 offset:36064
	ds_load_b128 v[216:219], v196 offset:3920
	ds_load_b128 v[72:75], v196 offset:9408
	ds_load_b128 v[68:71], v196 offset:14896
	ds_load_b128 v[64:67], v196 offset:20384
	ds_load_b128 v[60:63], v196 offset:25872
	ds_load_b128 v[56:59], v196 offset:31360
	ds_load_b128 v[52:55], v196 offset:36848
	ds_load_b128 v[240:243], v196 offset:4704
	ds_load_b128 v[44:47], v196 offset:10192
	ds_load_b128 v[40:43], v196 offset:15680
	ds_load_b128 v[32:35], v196 offset:21168
	ds_load_b128 v[28:31], v196 offset:26656
	ds_load_b128 v[24:27], v196 offset:32144
	ds_load_b128 v[20:23], v196 offset:37632
	scratch_load_b32 v0, off, off           ; 4-byte Folded Reload
	s_wait_loadcnt 0x0
	v_mad_co_u64_u32 v[8:9], null, 0x60, v0, s[6:7]
	s_clause 0x3
	global_load_b128 v[224:227], v[8:9], off offset:720
	global_load_b128 v[232:235], v[8:9], off offset:704
	;; [unrolled: 1-line block ×4, first 2 shown]
	s_wait_loadcnt_dscnt 0x2f
	v_mul_f64_e32 v[0:1], v[194:195], v[238:239]
	s_wait_dscnt 0x28
	v_mul_f64_e32 v[48:49], v[170:171], v[238:239]
	s_delay_alu instid0(VALU_DEP_2) | instskip(SKIP_1) | instid1(VALU_DEP_1)
	v_fma_f64 v[214:215], v[192:193], v[236:237], -v[0:1]
	v_mul_f64_e32 v[0:1], v[192:193], v[238:239]
	v_fma_f64 v[246:247], v[194:195], v[236:237], v[0:1]
	v_mul_f64_e32 v[0:1], v[190:191], v[222:223]
	s_delay_alu instid0(VALU_DEP_1) | instskip(SKIP_1) | instid1(VALU_DEP_1)
	v_fma_f64 v[210:211], v[188:189], v[220:221], -v[0:1]
	v_mul_f64_e32 v[0:1], v[188:189], v[222:223]
	v_fma_f64 v[14:15], v[190:191], v[220:221], v[0:1]
	v_mul_f64_e32 v[0:1], v[186:187], v[234:235]
	s_delay_alu instid0(VALU_DEP_1) | instskip(SKIP_1) | instid1(VALU_DEP_1)
	v_fma_f64 v[208:209], v[184:185], v[232:233], -v[0:1]
	v_mul_f64_e32 v[0:1], v[184:185], v[234:235]
	v_fma_f64 v[212:213], v[186:187], v[232:233], v[0:1]
	v_mul_f64_e32 v[0:1], v[182:183], v[226:227]
	s_delay_alu instid0(VALU_DEP_1) | instskip(SKIP_1) | instid1(VALU_DEP_1)
	v_fma_f64 v[12:13], v[180:181], v[224:225], -v[0:1]
	v_mul_f64_e32 v[0:1], v[180:181], v[226:227]
	v_fma_f64 v[10:11], v[182:183], v[224:225], v[0:1]
	s_clause 0x1
	global_load_b128 v[180:183], v[8:9], off offset:752
	global_load_b128 v[228:231], v[8:9], off offset:736
	s_clause 0x1
	scratch_store_b128 off, v[232:235], off offset:1296
	scratch_store_b128 off, v[224:227], off offset:1328
	s_wait_loadcnt 0x1
	scratch_store_b128 off, v[180:183], off offset:1344 ; 16-byte Folded Spill
	s_wait_loadcnt 0x0
	v_mul_f64_e32 v[0:1], v[178:179], v[230:231]
	s_delay_alu instid0(VALU_DEP_1) | instskip(SKIP_1) | instid1(VALU_DEP_1)
	v_fma_f64 v[6:7], v[176:177], v[228:229], -v[0:1]
	v_mul_f64_e32 v[0:1], v[176:177], v[230:231]
	v_fma_f64 v[4:5], v[178:179], v[228:229], v[0:1]
	v_mul_f64_e32 v[0:1], v[174:175], v[182:183]
	s_delay_alu instid0(VALU_DEP_1) | instskip(SKIP_3) | instid1(VALU_DEP_3)
	v_fma_f64 v[2:3], v[172:173], v[180:181], -v[0:1]
	v_mul_f64_e32 v[0:1], v[172:173], v[182:183]
	v_fma_f64 v[172:173], v[168:169], v[236:237], -v[48:49]
	v_mul_f64_e32 v[48:49], v[168:169], v[238:239]
	v_fma_f64 v[0:1], v[174:175], v[180:181], v[0:1]
	s_delay_alu instid0(VALU_DEP_2) | instskip(SKIP_2) | instid1(VALU_DEP_1)
	v_fma_f64 v[168:169], v[170:171], v[236:237], v[48:49]
	s_wait_dscnt 0x27
	v_mul_f64_e32 v[48:49], v[166:167], v[222:223]
	v_fma_f64 v[170:171], v[164:165], v[220:221], -v[48:49]
	v_mul_f64_e32 v[48:49], v[164:165], v[222:223]
	s_delay_alu instid0(VALU_DEP_1) | instskip(SKIP_2) | instid1(VALU_DEP_1)
	v_fma_f64 v[164:165], v[166:167], v[220:221], v[48:49]
	s_wait_dscnt 0x26
	v_mul_f64_e32 v[48:49], v[162:163], v[234:235]
	v_fma_f64 v[248:249], v[160:161], v[232:233], -v[48:49]
	v_mul_f64_e32 v[48:49], v[160:161], v[234:235]
	s_delay_alu instid0(VALU_DEP_1) | instskip(SKIP_2) | instid1(VALU_DEP_1)
	;; [unrolled: 6-line block ×4, first 2 shown]
	v_fma_f64 v[50:51], v[154:155], v[228:229], v[48:49]
	s_wait_dscnt 0x23
	v_mul_f64_e32 v[48:49], v[150:151], v[182:183]
	v_fma_f64 v[48:49], v[148:149], v[180:181], -v[48:49]
	v_mul_f64_e32 v[148:149], v[148:149], v[182:183]
	s_delay_alu instid0(VALU_DEP_1)
	v_fma_f64 v[178:179], v[150:151], v[180:181], v[148:149]
	s_clause 0x1
	scratch_load_b32 v148, off, off offset:796 th:TH_LOAD_LU
	scratch_load_b32 v150, off, off offset:876 th:TH_LOAD_LU
	s_wait_loadcnt 0x1
	v_mul_lo_u16 v148, 0x4f, v148
	s_delay_alu instid0(VALU_DEP_1) | instskip(SKIP_1) | instid1(VALU_DEP_1)
	v_lshrrev_b16 v148, 8, v148
	s_wait_loadcnt 0x0
	v_sub_nc_u16 v149, v150, v148
	s_delay_alu instid0(VALU_DEP_1) | instskip(NEXT) | instid1(VALU_DEP_1)
	v_lshrrev_b16 v149, 1, v149
	v_and_b32_e32 v149, 0x7f, v149
	s_delay_alu instid0(VALU_DEP_1) | instskip(NEXT) | instid1(VALU_DEP_1)
	v_add_nc_u16 v148, v149, v148
	v_lshrrev_b16 v148, 5, v148
	s_delay_alu instid0(VALU_DEP_1) | instskip(NEXT) | instid1(VALU_DEP_1)
	v_mul_lo_u16 v148, v148, 49
	v_sub_nc_u16 v148, v150, v148
	s_delay_alu instid0(VALU_DEP_1)
	v_and_b32_e32 v148, 0xff, v148
	scratch_store_b32 off, v148, off offset:796 ; 4-byte Folded Spill
	v_mad_co_u64_u32 v[148:149], null, 0x60, v148, s[6:7]
	s_clause 0x3
	global_load_b128 v[152:155], v[148:149], off offset:720
	global_load_b128 v[174:177], v[148:149], off offset:704
	;; [unrolled: 1-line block ×4, first 2 shown]
	s_wait_loadcnt 0x3
	scratch_store_b128 off, v[152:155], off offset:1036 ; 16-byte Folded Spill
	s_wait_loadcnt 0x2
	scratch_store_b128 off, v[174:177], off offset:1004 ; 16-byte Folded Spill
	;; [unrolled: 2-line block ×3, first 2 shown]
	s_wait_loadcnt_dscnt 0x21
	v_mul_f64_e32 v[150:151], v[146:147], v[186:187]
	scratch_store_b128 off, v[184:187], off offset:908 ; 16-byte Folded Spill
	v_fma_f64 v[234:235], v[144:145], v[184:185], -v[150:151]
	v_mul_f64_e32 v[144:145], v[144:145], v[186:187]
	s_delay_alu instid0(VALU_DEP_1) | instskip(SKIP_2) | instid1(VALU_DEP_1)
	v_fma_f64 v[144:145], v[146:147], v[184:185], v[144:145]
	s_wait_dscnt 0x20
	v_mul_f64_e32 v[146:147], v[142:143], v[182:183]
	v_fma_f64 v[146:147], v[140:141], v[180:181], -v[146:147]
	v_mul_f64_e32 v[140:141], v[140:141], v[182:183]
	s_delay_alu instid0(VALU_DEP_1) | instskip(SKIP_2) | instid1(VALU_DEP_1)
	v_fma_f64 v[140:141], v[142:143], v[180:181], v[140:141]
	s_wait_dscnt 0x1f
	v_mul_f64_e32 v[142:143], v[138:139], v[176:177]
	;; [unrolled: 6-line block ×3, first 2 shown]
	v_fma_f64 v[136:137], v[132:133], v[152:153], -v[136:137]
	v_mul_f64_e32 v[132:133], v[132:133], v[154:155]
	s_delay_alu instid0(VALU_DEP_1)
	v_fma_f64 v[134:135], v[134:135], v[152:153], v[132:133]
	s_clause 0x1
	global_load_b128 v[150:153], v[148:149], off offset:752
	global_load_b128 v[174:177], v[148:149], off offset:736
	s_wait_loadcnt 0x1
	scratch_store_b128 off, v[150:153], off offset:1100 ; 16-byte Folded Spill
	s_wait_loadcnt_dscnt 0x1d
	v_mul_f64_e32 v[132:133], v[130:131], v[176:177]
	scratch_store_b128 off, v[174:177], off offset:1052 ; 16-byte Folded Spill
	v_fma_f64 v[132:133], v[128:129], v[174:175], -v[132:133]
	v_mul_f64_e32 v[128:129], v[128:129], v[176:177]
	s_delay_alu instid0(VALU_DEP_1) | instskip(SKIP_2) | instid1(VALU_DEP_1)
	v_fma_f64 v[128:129], v[130:131], v[174:175], v[128:129]
	s_wait_dscnt 0x1c
	v_mul_f64_e32 v[130:131], v[126:127], v[152:153]
	v_fma_f64 v[250:251], v[124:125], v[150:151], -v[130:131]
	v_mul_f64_e32 v[124:125], v[124:125], v[152:153]
	scratch_load_b32 v130, off, off offset:892 th:TH_LOAD_LU ; 4-byte Folded Reload
	v_fma_f64 v[124:125], v[126:127], v[150:151], v[124:125]
	scratch_load_b32 v126, off, off offset:812 th:TH_LOAD_LU ; 4-byte Folded Reload
	s_wait_loadcnt 0x0
	v_mul_lo_u16 v126, 0x4f, v126
	s_delay_alu instid0(VALU_DEP_1) | instskip(NEXT) | instid1(VALU_DEP_1)
	v_lshrrev_b16 v126, 8, v126
	v_sub_nc_u16 v127, v130, v126
	s_delay_alu instid0(VALU_DEP_1) | instskip(NEXT) | instid1(VALU_DEP_1)
	v_lshrrev_b16 v127, 1, v127
	v_and_b32_e32 v127, 0x7f, v127
	s_delay_alu instid0(VALU_DEP_1) | instskip(NEXT) | instid1(VALU_DEP_1)
	v_add_nc_u16 v126, v127, v126
	v_lshrrev_b16 v126, 5, v126
	s_delay_alu instid0(VALU_DEP_1) | instskip(NEXT) | instid1(VALU_DEP_1)
	v_mul_lo_u16 v126, v126, 49
	v_sub_nc_u16 v126, v130, v126
	s_delay_alu instid0(VALU_DEP_1) | instskip(NEXT) | instid1(VALU_DEP_1)
	v_and_b32_e32 v126, 0xff, v126
	v_mad_co_u64_u32 v[138:139], null, 0x60, v126, s[6:7]
	scratch_store_b32 off, v126, off offset:812 ; 4-byte Folded Spill
	s_clause 0x3
	global_load_b128 v[148:151], v[138:139], off offset:720
	global_load_b128 v[152:155], v[138:139], off offset:704
	;; [unrolled: 1-line block ×4, first 2 shown]
	s_wait_loadcnt 0x3
	scratch_store_b128 off, v[148:151], off offset:1232 ; 16-byte Folded Spill
	s_wait_loadcnt 0x2
	scratch_store_b128 off, v[152:155], off offset:1216 ; 16-byte Folded Spill
	;; [unrolled: 2-line block ×3, first 2 shown]
	s_wait_loadcnt_dscnt 0x1a
	v_mul_f64_e32 v[126:127], v[122:123], v[186:187]
	scratch_store_b128 off, v[184:187], off offset:1184 ; 16-byte Folded Spill
	v_fma_f64 v[174:175], v[120:121], v[184:185], -v[126:127]
	s_wait_dscnt 0x19
	v_mul_f64_e32 v[126:127], v[118:119], v[182:183]
	v_mul_f64_e32 v[120:121], v[120:121], v[186:187]
	s_delay_alu instid0(VALU_DEP_2) | instskip(SKIP_1) | instid1(VALU_DEP_3)
	v_fma_f64 v[126:127], v[116:117], v[180:181], -v[126:127]
	v_mul_f64_e32 v[116:117], v[116:117], v[182:183]
	v_fma_f64 v[121:122], v[122:123], v[184:185], v[120:121]
	s_delay_alu instid0(VALU_DEP_2) | instskip(SKIP_2) | instid1(VALU_DEP_1)
	v_fma_f64 v[118:119], v[118:119], v[180:181], v[116:117]
	s_wait_dscnt 0x18
	v_mul_f64_e32 v[116:117], v[114:115], v[154:155]
	v_fma_f64 v[130:131], v[112:113], v[152:153], -v[116:117]
	v_mul_f64_e32 v[112:113], v[112:113], v[154:155]
	s_delay_alu instid0(VALU_DEP_1) | instskip(SKIP_2) | instid1(VALU_DEP_1)
	v_fma_f64 v[116:117], v[114:115], v[152:153], v[112:113]
	s_wait_dscnt 0x17
	v_mul_f64_e32 v[112:113], v[110:111], v[150:151]
	v_fma_f64 v[114:115], v[108:109], v[148:149], -v[112:113]
	v_mul_f64_e32 v[108:109], v[108:109], v[150:151]
	s_delay_alu instid0(VALU_DEP_1)
	v_fma_f64 v[112:113], v[110:111], v[148:149], v[108:109]
	s_clause 0x1
	global_load_b128 v[148:151], v[138:139], off offset:752
	global_load_b128 v[152:155], v[138:139], off offset:736
	s_wait_loadcnt 0x1
	scratch_store_b128 off, v[148:151], off offset:1312 ; 16-byte Folded Spill
	s_wait_loadcnt_dscnt 0x16
	v_mul_f64_e32 v[108:109], v[106:107], v[154:155]
	scratch_store_b128 off, v[152:155], off offset:1280 ; 16-byte Folded Spill
	v_fma_f64 v[110:111], v[104:105], v[152:153], -v[108:109]
	v_mul_f64_e32 v[104:105], v[104:105], v[154:155]
	s_delay_alu instid0(VALU_DEP_1) | instskip(SKIP_2) | instid1(VALU_DEP_1)
	v_fma_f64 v[108:109], v[106:107], v[152:153], v[104:105]
	s_wait_dscnt 0x15
	v_mul_f64_e32 v[104:105], v[102:103], v[150:151]
	v_fma_f64 v[106:107], v[100:101], v[148:149], -v[104:105]
	v_mul_f64_e32 v[100:101], v[100:101], v[150:151]
	s_delay_alu instid0(VALU_DEP_1)
	v_fma_f64 v[104:105], v[102:103], v[148:149], v[100:101]
	s_clause 0x1
	scratch_load_b32 v100, off, off offset:828 th:TH_LOAD_LU
	scratch_load_b32 v102, off, off offset:956 th:TH_LOAD_LU
	s_wait_loadcnt 0x1
	v_mul_lo_u16 v100, 0x4f, v100
	s_delay_alu instid0(VALU_DEP_1) | instskip(SKIP_1) | instid1(VALU_DEP_1)
	v_lshrrev_b16 v100, 8, v100
	s_wait_loadcnt 0x0
	v_sub_nc_u16 v101, v102, v100
	s_delay_alu instid0(VALU_DEP_1) | instskip(NEXT) | instid1(VALU_DEP_1)
	v_lshrrev_b16 v101, 1, v101
	v_and_b32_e32 v101, 0x7f, v101
	s_delay_alu instid0(VALU_DEP_1) | instskip(NEXT) | instid1(VALU_DEP_1)
	v_add_nc_u16 v100, v101, v100
	v_lshrrev_b16 v100, 5, v100
	s_delay_alu instid0(VALU_DEP_1) | instskip(NEXT) | instid1(VALU_DEP_1)
	v_mul_lo_u16 v100, v100, 49
	v_sub_nc_u16 v100, v102, v100
	s_delay_alu instid0(VALU_DEP_1)
	v_and_b32_e32 v100, 0xff, v100
	scratch_store_b32 off, v100, off offset:828 ; 4-byte Folded Spill
	v_mad_co_u64_u32 v[100:101], null, 0x60, v100, s[6:7]
	s_clause 0x3
	global_load_b128 v[148:151], v[100:101], off offset:720
	global_load_b128 v[152:155], v[100:101], off offset:704
	;; [unrolled: 1-line block ×4, first 2 shown]
	s_wait_loadcnt 0x3
	scratch_store_b128 off, v[148:151], off offset:1496 ; 16-byte Folded Spill
	s_wait_loadcnt 0x2
	scratch_store_b128 off, v[152:155], off offset:1464 ; 16-byte Folded Spill
	;; [unrolled: 2-line block ×3, first 2 shown]
	s_wait_loadcnt_dscnt 0x13
	v_mul_f64_e32 v[102:103], v[98:99], v[188:189]
	scratch_store_b128 off, v[186:189], off offset:1432 ; 16-byte Folded Spill
	v_fma_f64 v[180:181], v[96:97], v[186:187], -v[102:103]
	v_mul_f64_e32 v[96:97], v[96:97], v[188:189]
	s_delay_alu instid0(VALU_DEP_1) | instskip(SKIP_3) | instid1(VALU_DEP_2)
	v_fma_f64 v[176:177], v[98:99], v[186:187], v[96:97]
	s_wait_dscnt 0x12
	v_mul_f64_e32 v[96:97], v[94:95], v[184:185]
	v_add_f64_e64 v[98:99], v[114:115], -v[130:131]
	v_fma_f64 v[186:187], v[92:93], v[182:183], -v[96:97]
	v_mul_f64_e32 v[92:93], v[92:93], v[184:185]
	v_add_f64_e32 v[96:97], v[116:117], v[112:113]
	s_delay_alu instid0(VALU_DEP_2) | instskip(SKIP_2) | instid1(VALU_DEP_1)
	v_fma_f64 v[182:183], v[94:95], v[182:183], v[92:93]
	s_wait_dscnt 0x11
	v_mul_f64_e32 v[92:93], v[90:91], v[154:155]
	v_fma_f64 v[188:189], v[88:89], v[152:153], -v[92:93]
	v_mul_f64_e32 v[88:89], v[88:89], v[154:155]
	s_delay_alu instid0(VALU_DEP_1) | instskip(SKIP_2) | instid1(VALU_DEP_1)
	v_fma_f64 v[184:185], v[90:91], v[152:153], v[88:89]
	s_wait_dscnt 0x10
	v_mul_f64_e32 v[88:89], v[86:87], v[150:151]
	v_fma_f64 v[166:167], v[84:85], v[148:149], -v[88:89]
	v_mul_f64_e32 v[84:85], v[84:85], v[150:151]
	s_delay_alu instid0(VALU_DEP_1)
	v_fma_f64 v[154:155], v[86:87], v[148:149], v[84:85]
	s_clause 0x1
	global_load_b128 v[86:89], v[100:101], off offset:752
	global_load_b128 v[90:93], v[100:101], off offset:736
	s_wait_loadcnt 0x1
	scratch_store_b128 off, v[86:89], off offset:1544 ; 16-byte Folded Spill
	s_wait_loadcnt_dscnt 0xf
	v_mul_f64_e32 v[84:85], v[82:83], v[92:93]
	scratch_store_b128 off, v[90:93], off offset:1528 ; 16-byte Folded Spill
	v_fma_f64 v[152:153], v[80:81], v[90:91], -v[84:85]
	v_mul_f64_e32 v[80:81], v[80:81], v[92:93]
	s_delay_alu instid0(VALU_DEP_1) | instskip(SKIP_2) | instid1(VALU_DEP_1)
	v_fma_f64 v[150:151], v[82:83], v[90:91], v[80:81]
	s_wait_dscnt 0xe
	v_mul_f64_e32 v[80:81], v[78:79], v[88:89]
	v_fma_f64 v[148:149], v[76:77], v[86:87], -v[80:81]
	v_mul_f64_e32 v[76:77], v[76:77], v[88:89]
	s_delay_alu instid0(VALU_DEP_1)
	v_fma_f64 v[138:139], v[78:79], v[86:87], v[76:77]
	s_clause 0x1
	scratch_load_b32 v76, off, off offset:860 th:TH_LOAD_LU
	scratch_load_b32 v78, off, off offset:988 th:TH_LOAD_LU
	s_wait_loadcnt 0x1
	v_mul_u32_u24_e32 v76, 0x4e5f, v76
	s_delay_alu instid0(VALU_DEP_1) | instskip(SKIP_1) | instid1(VALU_DEP_1)
	v_lshrrev_b32_e32 v76, 16, v76
	s_wait_loadcnt 0x0
	v_sub_nc_u16 v77, v78, v76
	s_delay_alu instid0(VALU_DEP_1) | instskip(NEXT) | instid1(VALU_DEP_1)
	v_lshrrev_b16 v77, 1, v77
	v_add_nc_u16 v76, v77, v76
	s_delay_alu instid0(VALU_DEP_1) | instskip(NEXT) | instid1(VALU_DEP_1)
	v_lshrrev_b16 v76, 5, v76
	v_mul_lo_u16 v76, v76, 49
	s_delay_alu instid0(VALU_DEP_1) | instskip(NEXT) | instid1(VALU_DEP_1)
	v_sub_nc_u16 v120, v78, v76
	v_mul_lo_u16 v76, 0x60, v120
	s_delay_alu instid0(VALU_DEP_1) | instskip(NEXT) | instid1(VALU_DEP_1)
	v_and_b32_e32 v76, 0xffff, v76
	v_add_co_u32 v76, s33, s6, v76
	s_delay_alu instid0(VALU_DEP_1)
	v_add_co_ci_u32_e64 v77, null, s7, 0, s33
	s_clause 0x3
	global_load_b128 v[80:83], v[76:77], off offset:720
	global_load_b128 v[84:87], v[76:77], off offset:704
	;; [unrolled: 1-line block ×4, first 2 shown]
	s_wait_loadcnt_dscnt 0xc
	v_mul_f64_e32 v[78:79], v[74:75], v[94:95]
	s_delay_alu instid0(VALU_DEP_1)
	v_fma_f64 v[78:79], v[72:73], v[92:93], -v[78:79]
	v_mul_f64_e32 v[72:73], v[72:73], v[94:95]
	s_clause 0x1
	scratch_store_b64 off, v[78:79], off offset:1360
	scratch_store_b128 off, v[92:95], off offset:1756
	v_fma_f64 v[244:245], v[74:75], v[92:93], v[72:73]
	s_wait_dscnt 0xb
	v_mul_f64_e32 v[72:73], v[70:71], v[90:91]
	v_add_f64_e32 v[94:95], v[130:131], v[114:115]
	v_add_f64_e32 v[130:131], v[184:185], v[154:155]
	s_delay_alu instid0(VALU_DEP_3)
	v_fma_f64 v[72:73], v[68:69], v[88:89], -v[72:73]
	v_mul_f64_e32 v[68:69], v[68:69], v[90:91]
	s_clause 0x1
	scratch_store_b128 off, v[88:91], off offset:1772
	scratch_store_b64 off, v[72:73], off offset:1264
	v_fma_f64 v[68:69], v[70:71], v[88:89], v[68:69]
	s_clause 0x1
	scratch_store_b64 off, v[68:69], off offset:1368
	scratch_store_b128 off, v[84:87], off offset:1788
	s_wait_dscnt 0xa
	v_mul_f64_e32 v[68:69], v[66:67], v[86:87]
	v_add_f64_e64 v[72:73], v[134:135], -v[226:227]
	s_delay_alu instid0(VALU_DEP_2)
	v_fma_f64 v[68:69], v[64:65], v[84:85], -v[68:69]
	v_mul_f64_e32 v[64:65], v[64:65], v[86:87]
	scratch_store_b64 off, v[68:69], off offset:1168 ; 8-byte Folded Spill
	v_fma_f64 v[64:65], v[66:67], v[84:85], v[64:65]
	s_clause 0x1
	scratch_store_b64 off, v[64:65], off offset:1248
	scratch_store_b128 off, v[80:83], off offset:1804
	s_wait_dscnt 0x9
	v_mul_f64_e32 v[64:65], v[62:63], v[82:83]
	s_delay_alu instid0(VALU_DEP_1) | instskip(SKIP_1) | instid1(VALU_DEP_1)
	v_fma_f64 v[232:233], v[60:61], v[80:81], -v[64:65]
	v_mul_f64_e32 v[60:61], v[60:61], v[82:83]
	v_fma_f64 v[224:225], v[62:63], v[80:81], v[60:61]
	s_clause 0x1
	global_load_b128 v[62:65], v[76:77], off offset:752
	global_load_b128 v[66:69], v[76:77], off offset:736
	s_wait_loadcnt 0x1
	scratch_store_b128 off, v[62:65], off offset:1840 ; 16-byte Folded Spill
	s_wait_loadcnt_dscnt 0x8
	v_mul_f64_e32 v[60:61], v[58:59], v[68:69]
	scratch_store_b128 off, v[66:69], off offset:1820 ; 16-byte Folded Spill
	v_fma_f64 v[202:203], v[56:57], v[66:67], -v[60:61]
	v_mul_f64_e32 v[56:57], v[56:57], v[68:69]
	s_delay_alu instid0(VALU_DEP_1) | instskip(SKIP_2) | instid1(VALU_DEP_1)
	v_fma_f64 v[194:195], v[58:59], v[66:67], v[56:57]
	s_wait_dscnt 0x7
	v_mul_f64_e32 v[56:57], v[54:55], v[64:65]
	v_fma_f64 v[192:193], v[52:53], v[62:63], -v[56:57]
	v_mul_f64_e32 v[52:53], v[52:53], v[64:65]
	s_delay_alu instid0(VALU_DEP_1) | instskip(SKIP_3) | instid1(VALU_DEP_1)
	v_fma_f64 v[190:191], v[54:55], v[62:63], v[52:53]
	scratch_load_b32 v52, off, off offset:844 th:TH_LOAD_LU ; 4-byte Folded Reload
	s_wait_loadcnt 0x0
	v_mul_u32_u24_e32 v52, 0x4e5f, v52
	v_lshrrev_b32_e32 v52, 16, v52
	s_delay_alu instid0(VALU_DEP_1) | instskip(NEXT) | instid1(VALU_DEP_1)
	v_sub_nc_u16 v53, v201, v52
	v_lshrrev_b16 v53, 1, v53
	s_delay_alu instid0(VALU_DEP_1) | instskip(NEXT) | instid1(VALU_DEP_1)
	v_add_nc_u16 v52, v53, v52
	v_lshrrev_b16 v52, 5, v52
	s_delay_alu instid0(VALU_DEP_1) | instskip(NEXT) | instid1(VALU_DEP_1)
	v_mul_lo_u16 v52, v52, 49
	v_sub_nc_u16 v123, v201, v52
	s_delay_alu instid0(VALU_DEP_1) | instskip(NEXT) | instid1(VALU_DEP_1)
	v_mul_lo_u16 v52, 0x60, v123
	v_and_b32_e32 v52, 0xffff, v52
	s_delay_alu instid0(VALU_DEP_1)
	v_add_co_u32 v52, s33, s6, v52
	s_wait_alu 0xf1ff
	v_add_co_ci_u32_e64 v53, null, s7, 0, s33
	s_clause 0x3
	global_load_b128 v[56:59], v[52:53], off offset:720
	global_load_b128 v[60:63], v[52:53], off offset:704
	;; [unrolled: 1-line block ×4, first 2 shown]
	s_wait_loadcnt_dscnt 0x5
	v_mul_f64_e32 v[54:55], v[46:47], v[70:71]
	s_delay_alu instid0(VALU_DEP_1)
	v_fma_f64 v[54:55], v[44:45], v[68:69], -v[54:55]
	v_mul_f64_e32 v[44:45], v[44:45], v[70:71]
	s_clause 0x1
	scratch_store_b64 off, v[54:55], off offset:1020
	scratch_store_b128 off, v[68:71], off offset:2052
	v_fma_f64 v[44:45], v[46:47], v[68:69], v[44:45]
	s_clause 0x1
	scratch_store_b64 off, v[44:45], off offset:1068
	scratch_store_b128 off, v[64:67], off offset:2068
	s_wait_dscnt 0x4
	v_mul_f64_e32 v[44:45], v[42:43], v[66:67]
	v_add_f64_e32 v[68:69], v[226:227], v[134:135]
	v_add_f64_e64 v[70:71], v[136:137], -v[142:143]
	v_add_f64_e64 v[134:135], v[154:155], -v[184:185]
	s_delay_alu instid0(VALU_DEP_4)
	v_fma_f64 v[44:45], v[40:41], v[64:65], -v[44:45]
	v_mul_f64_e32 v[40:41], v[40:41], v[66:67]
	scratch_store_b64 off, v[44:45], off offset:876 ; 8-byte Folded Spill
	v_fma_f64 v[40:41], v[42:43], v[64:65], v[40:41]
	s_clause 0x1
	scratch_store_b64 off, v[40:41], off offset:892
	scratch_store_b128 off, v[60:63], off offset:2084
	s_wait_dscnt 0x3
	v_mul_f64_e32 v[40:41], v[34:35], v[62:63]
	s_delay_alu instid0(VALU_DEP_1)
	v_fma_f64 v[40:41], v[32:33], v[60:61], -v[40:41]
	v_mul_f64_e32 v[32:33], v[32:33], v[62:63]
	scratch_store_b64 off, v[40:41], off offset:844 ; 8-byte Folded Spill
	v_fma_f64 v[32:33], v[34:35], v[60:61], v[32:33]
	s_clause 0x1
	scratch_store_b64 off, v[32:33], off offset:860
	scratch_store_b128 off, v[56:59], off offset:2100
	s_wait_dscnt 0x2
	v_mul_f64_e32 v[32:33], v[30:31], v[58:59]
	s_delay_alu instid0(VALU_DEP_1) | instskip(SKIP_1) | instid1(VALU_DEP_1)
	v_fma_f64 v[32:33], v[28:29], v[56:57], -v[32:33]
	v_mul_f64_e32 v[28:29], v[28:29], v[58:59]
	v_fma_f64 v[28:29], v[30:31], v[56:57], v[28:29]
	s_clause 0x1
	scratch_store_b64 off, v[32:33], off offset:956
	scratch_store_b64 off, v[28:29], off offset:988
	s_clause 0x1
	global_load_b128 v[30:33], v[52:53], off offset:752
	global_load_b128 v[40:43], v[52:53], off offset:736
	s_wait_loadcnt_dscnt 0x1
	v_mul_f64_e32 v[28:29], v[26:27], v[42:43]
	s_delay_alu instid0(VALU_DEP_1)
	v_fma_f64 v[28:29], v[24:25], v[40:41], -v[28:29]
	v_mul_f64_e32 v[24:25], v[24:25], v[42:43]
	s_clause 0x1
	scratch_store_b64 off, v[28:29], off offset:1084
	scratch_store_b128 off, v[40:43], off offset:2132
	v_fma_f64 v[24:25], v[26:27], v[40:41], v[24:25]
	s_clause 0x1
	scratch_store_b64 off, v[24:25], off offset:1120
	scratch_store_b128 off, v[30:33], off offset:2164
	s_wait_dscnt 0x0
	v_mul_f64_e32 v[24:25], v[22:23], v[32:33]
	v_add_f64_e32 v[26:27], v[14:15], v[4:5]
	v_add_f64_e64 v[4:5], v[14:15], -v[4:5]
	v_add_f64_e32 v[14:15], v[208:209], v[12:13]
	v_add_f64_e32 v[28:29], v[212:213], v[10:11]
	v_add_f64_e64 v[12:13], v[12:13], -v[208:209]
	v_add_f64_e64 v[10:11], v[10:11], -v[212:213]
	v_fma_f64 v[24:25], v[20:21], v[30:31], -v[24:25]
	v_mul_f64_e32 v[20:21], v[20:21], v[32:33]
	s_delay_alu instid0(VALU_DEP_3) | instskip(SKIP_1) | instid1(VALU_DEP_3)
	v_add_f64_e32 v[44:45], v[10:11], v[4:5]
	v_add_f64_e64 v[52:53], v[10:11], -v[4:5]
	v_fma_f64 v[20:21], v[22:23], v[30:31], v[20:21]
	scratch_store_b64 off, v[24:25], off offset:1136 ; 8-byte Folded Spill
	v_add_f64_e32 v[22:23], v[246:247], v[0:1]
	v_add_f64_e32 v[24:25], v[210:211], v[6:7]
	v_add_f64_e64 v[0:1], v[246:247], -v[0:1]
	v_add_f64_e64 v[6:7], v[210:211], -v[6:7]
	scratch_store_b64 off, v[20:21], off offset:1152 ; 8-byte Folded Spill
	v_add_f64_e32 v[20:21], v[214:215], v[2:3]
	v_add_f64_e64 v[2:3], v[214:215], -v[2:3]
	v_add_f64_e32 v[32:33], v[26:27], v[22:23]
	v_add_f64_e64 v[40:41], v[26:27], -v[22:23]
	v_add_f64_e64 v[22:23], v[22:23], -v[28:29]
	;; [unrolled: 1-line block ×3, first 2 shown]
	v_add_f64_e32 v[42:43], v[12:13], v[6:7]
	v_add_f64_e64 v[46:47], v[12:13], -v[6:7]
	v_add_f64_e64 v[4:5], v[4:5], -v[0:1]
	;; [unrolled: 1-line block ×3, first 2 shown]
	v_add_f64_e32 v[0:1], v[44:45], v[0:1]
	v_add_f64_e32 v[30:31], v[24:25], v[20:21]
	v_add_f64_e64 v[34:35], v[24:25], -v[20:21]
	v_add_f64_e64 v[20:21], v[20:21], -v[14:15]
	;; [unrolled: 1-line block ×4, first 2 shown]
	v_add_f64_e32 v[28:29], v[28:29], v[32:33]
	v_add_f64_e64 v[12:13], v[2:3], -v[12:13]
	v_add_f64_e32 v[2:3], v[42:43], v[2:3]
	v_mul_f64_e32 v[32:33], s[26:27], v[52:53]
	v_mul_f64_e32 v[44:45], s[10:11], v[4:5]
	v_add_f64_e32 v[14:15], v[14:15], v[30:31]
	v_mul_f64_e32 v[30:31], s[26:27], v[46:47]
	v_add_f64_e64 v[46:47], v[160:161], -v[248:249]
	v_mul_f64_e32 v[42:43], s[10:11], v[6:7]
	v_add_f64_e32 v[102:103], v[18:19], v[28:29]
	v_mul_f64_e32 v[18:19], s[30:31], v[22:23]
	v_mul_f64_e32 v[22:23], s[14:15], v[26:27]
	v_fma_f64 v[4:5], v[4:5], s[28:29], -v[32:33]
	v_add_f64_e32 v[100:101], v[16:17], v[14:15]
	v_mul_f64_e32 v[16:17], s[30:31], v[20:21]
	v_mul_f64_e32 v[20:21], s[14:15], v[24:25]
	v_fma_f64 v[6:7], v[6:7], s[28:29], -v[30:31]
	v_fma_f64 v[28:29], v[28:29], s[24:25], v[102:103]
	v_fma_f64 v[26:27], v[26:27], s[14:15], v[18:19]
	v_fma_f64 v[22:23], v[40:41], s[18:19], -v[22:23]
	v_fma_f64 v[18:19], v[40:41], s[20:21], -v[18:19]
	v_fma_f64 v[40:41], v[10:11], s[16:17], v[32:33]
	v_fma_f64 v[10:11], v[10:11], s[22:23], v[44:45]
	;; [unrolled: 1-line block ×3, first 2 shown]
	v_add_f64_e32 v[44:45], v[162:163], v[158:159]
	v_fma_f64 v[14:15], v[14:15], s[24:25], v[100:101]
	v_fma_f64 v[24:25], v[24:25], s[14:15], v[16:17]
	v_fma_f64 v[20:21], v[34:35], s[18:19], -v[20:21]
	v_fma_f64 v[16:17], v[34:35], s[20:21], -v[16:17]
	v_fma_f64 v[34:35], v[12:13], s[16:17], v[30:31]
	v_fma_f64 v[12:13], v[12:13], s[22:23], v[42:43]
	;; [unrolled: 1-line block ×3, first 2 shown]
	v_add_f64_e32 v[42:43], v[26:27], v[28:29]
	v_add_f64_e32 v[30:31], v[18:19], v[28:29]
	v_fma_f64 v[40:41], v[0:1], s[8:9], v[40:41]
	v_fma_f64 v[0:1], v[0:1], s[8:9], v[10:11]
	v_add_f64_e32 v[26:27], v[22:23], v[28:29]
	v_add_f64_e32 v[10:11], v[170:171], v[156:157]
	;; [unrolled: 1-line block ×5, first 2 shown]
	v_fma_f64 v[34:35], v[2:3], s[8:9], v[34:35]
	v_fma_f64 v[2:3], v[2:3], s[8:9], v[12:13]
	v_add_f64_e32 v[12:13], v[164:165], v[50:51]
	v_add_f64_e32 v[22:23], v[6:7], v[26:27]
	v_add_f64_e64 v[26:27], v[26:27], -v[6:7]
	v_add_f64_e64 v[6:7], v[168:169], -v[178:179]
	v_add_f64_e32 v[208:209], v[40:41], v[32:33]
	v_add_f64_e64 v[20:21], v[24:25], -v[4:5]
	v_add_f64_e32 v[16:17], v[0:1], v[14:15]
	v_add_f64_e64 v[28:29], v[14:15], -v[0:1]
	v_add_f64_e64 v[18:19], v[30:31], -v[2:3]
	v_add_f64_e32 v[30:31], v[2:3], v[30:31]
	v_add_f64_e32 v[0:1], v[172:173], v[48:49]
	;; [unrolled: 1-line block ×3, first 2 shown]
	v_add_f64_e64 v[210:211], v[42:43], -v[34:35]
	v_add_f64_e32 v[24:25], v[4:5], v[24:25]
	v_add_f64_e64 v[32:33], v[32:33], -v[40:41]
	v_add_f64_e32 v[34:35], v[34:35], v[42:43]
	v_add_f64_e64 v[4:5], v[172:173], -v[48:49]
	v_add_f64_e64 v[14:15], v[170:171], -v[156:157]
	;; [unrolled: 1-line block ×3, first 2 shown]
	v_add_f64_e32 v[42:43], v[248:249], v[160:161]
	v_add_f64_e64 v[48:49], v[158:159], -v[162:163]
	s_clause 0x1
	scratch_load_b64 v[156:157], off, off offset:1168 th:TH_LOAD_LU
	scratch_load_b64 v[158:159], off, off offset:1248 th:TH_LOAD_LU
	v_add_f64_e32 v[50:51], v[10:11], v[0:1]
	v_add_f64_e32 v[52:53], v[12:13], v[2:3]
	v_add_f64_e64 v[54:55], v[10:11], -v[0:1]
	v_add_f64_e64 v[56:57], v[12:13], -v[2:3]
	;; [unrolled: 1-line block ×4, first 2 shown]
	v_add_f64_e32 v[58:59], v[46:47], v[14:15]
	v_add_f64_e64 v[62:63], v[46:47], -v[14:15]
	v_add_f64_e64 v[0:1], v[0:1], -v[42:43]
	;; [unrolled: 1-line block ×3, first 2 shown]
	v_add_f64_e32 v[60:61], v[48:49], v[40:41]
	v_add_f64_e64 v[64:65], v[48:49], -v[40:41]
	v_add_f64_e64 v[14:15], v[14:15], -v[4:5]
	;; [unrolled: 1-line block ×5, first 2 shown]
	v_add_f64_e32 v[42:43], v[42:43], v[50:51]
	v_add_f64_e32 v[44:45], v[44:45], v[52:53]
	v_mul_f64_e32 v[2:3], s[30:31], v[2:3]
	v_mul_f64_e32 v[52:53], s[14:15], v[12:13]
	v_add_f64_e32 v[4:5], v[58:59], v[4:5]
	v_mul_f64_e32 v[58:59], s[26:27], v[62:63]
	v_mul_f64_e32 v[0:1], s[30:31], v[0:1]
	v_mul_f64_e32 v[50:51], s[14:15], v[10:11]
	v_add_f64_e32 v[6:7], v[60:61], v[6:7]
	v_mul_f64_e32 v[60:61], s[26:27], v[64:65]
	v_mul_f64_e32 v[62:63], s[10:11], v[14:15]
	;; [unrolled: 1-line block ×3, first 2 shown]
	v_add_f64_e32 v[36:37], v[36:37], v[42:43]
	v_add_f64_e32 v[38:39], v[38:39], v[44:45]
	v_fma_f64 v[12:13], v[12:13], s[14:15], v[2:3]
	v_fma_f64 v[52:53], v[56:57], s[18:19], -v[52:53]
	v_fma_f64 v[2:3], v[56:57], s[20:21], -v[2:3]
	;; [unrolled: 1-line block ×3, first 2 shown]
	v_fma_f64 v[10:11], v[10:11], s[14:15], v[0:1]
	v_fma_f64 v[50:51], v[54:55], s[18:19], -v[50:51]
	v_fma_f64 v[0:1], v[54:55], s[20:21], -v[0:1]
	v_fma_f64 v[54:55], v[46:47], s[16:17], v[58:59]
	v_fma_f64 v[56:57], v[48:49], s[16:17], v[60:61]
	v_fma_f64 v[40:41], v[40:41], s[28:29], -v[60:61]
	v_fma_f64 v[46:47], v[46:47], s[22:23], v[62:63]
	v_fma_f64 v[48:49], v[48:49], s[22:23], v[64:65]
	;; [unrolled: 1-line block ×10, first 2 shown]
	v_add_f64_e64 v[48:49], v[140:141], -v[128:129]
	v_add_f64_e32 v[10:11], v[10:11], v[42:43]
	v_add_f64_e32 v[12:13], v[12:13], v[44:45]
	;; [unrolled: 1-line block ×7, first 2 shown]
	v_add_f64_e64 v[88:89], v[72:73], -v[48:49]
	v_add_f64_e32 v[44:45], v[64:65], v[10:11]
	v_add_f64_e64 v[46:47], v[12:13], -v[66:67]
	v_add_f64_e32 v[40:41], v[6:7], v[0:1]
	v_add_f64_e64 v[42:43], v[2:3], -v[4:5]
	v_add_f64_e64 v[60:61], v[0:1], -v[6:7]
	v_add_f64_e32 v[62:63], v[4:5], v[2:3]
	v_add_f64_e64 v[64:65], v[10:11], -v[64:65]
	v_add_f64_e32 v[66:67], v[66:67], v[12:13]
	v_add_f64_e32 v[0:1], v[234:235], v[250:251]
	;; [unrolled: 1-line block ×5, first 2 shown]
	v_add_f64_e64 v[52:53], v[50:51], -v[56:57]
	v_add_f64_e32 v[54:55], v[14:15], v[58:59]
	v_add_f64_e32 v[56:57], v[56:57], v[50:51]
	v_add_f64_e64 v[58:59], v[58:59], -v[14:15]
	v_add_f64_e64 v[4:5], v[234:235], -v[250:251]
	;; [unrolled: 1-line block ×4, first 2 shown]
	v_add_f64_e32 v[50:51], v[142:143], v[136:137]
	v_add_f64_e32 v[128:129], v[188:189], v[166:167]
	v_add_f64_e64 v[132:133], v[166:167], -v[188:189]
	v_add_f64_e32 v[74:75], v[10:11], v[0:1]
	v_add_f64_e32 v[76:77], v[12:13], v[2:3]
	v_add_f64_e64 v[78:79], v[10:11], -v[0:1]
	v_add_f64_e64 v[80:81], v[12:13], -v[2:3]
	;; [unrolled: 1-line block ×5, first 2 shown]
	v_add_f64_e32 v[82:83], v[70:71], v[14:15]
	v_add_f64_e64 v[0:1], v[0:1], -v[50:51]
	v_add_f64_e64 v[10:11], v[50:51], -v[10:11]
	;; [unrolled: 1-line block ×6, first 2 shown]
	v_add_f64_e32 v[6:7], v[84:85], v[6:7]
	v_add_f64_e32 v[74:75], v[50:51], v[74:75]
	;; [unrolled: 1-line block ×3, first 2 shown]
	v_mul_f64_e32 v[2:3], s[30:31], v[2:3]
	v_mul_f64_e32 v[92:93], s[10:11], v[90:91]
	v_add_f64_e32 v[4:5], v[82:83], v[4:5]
	v_mul_f64_e32 v[0:1], s[30:31], v[0:1]
	v_mul_f64_e32 v[76:77], s[14:15], v[10:11]
	;; [unrolled: 1-line block ×6, first 2 shown]
	s_wait_loadcnt 0x0
	v_add_f64_e32 v[154:155], v[158:159], v[224:225]
	v_add_f64_e64 v[158:159], v[224:225], -v[158:159]
	v_add_f64_e32 v[48:49], v[252:253], v[74:75]
	v_add_f64_e32 v[50:51], v[254:255], v[68:69]
	v_fma_f64 v[12:13], v[12:13], s[14:15], v[2:3]
	v_fma_f64 v[2:3], v[80:81], s[20:21], -v[2:3]
	v_fma_f64 v[10:11], v[10:11], s[14:15], v[0:1]
	v_fma_f64 v[76:77], v[78:79], s[18:19], -v[76:77]
	v_fma_f64 v[82:83], v[80:81], s[18:19], -v[82:83]
	;; [unrolled: 1-line block ×3, first 2 shown]
	v_fma_f64 v[78:79], v[70:71], s[16:17], v[84:85]
	v_fma_f64 v[80:81], v[72:73], s[16:17], v[86:87]
	v_fma_f64 v[14:15], v[14:15], s[28:29], -v[84:85]
	v_fma_f64 v[84:85], v[90:91], s[28:29], -v[86:87]
	v_fma_f64 v[70:71], v[70:71], s[22:23], v[88:89]
	v_fma_f64 v[72:73], v[72:73], s[22:23], v[92:93]
	v_add_f64_e64 v[92:93], v[118:119], -v[108:109]
	v_fma_f64 v[74:75], v[74:75], s[24:25], v[48:49]
	v_fma_f64 v[68:69], v[68:69], s[24:25], v[50:51]
	;; [unrolled: 1-line block ×8, first 2 shown]
	v_add_f64_e32 v[10:11], v[10:11], v[74:75]
	v_add_f64_e32 v[12:13], v[12:13], v[68:69]
	;; [unrolled: 1-line block ×7, first 2 shown]
	v_add_f64_e64 v[74:75], v[12:13], -v[90:91]
	v_add_f64_e64 v[76:77], v[86:87], -v[80:81]
	v_add_f64_e32 v[68:69], v[6:7], v[0:1]
	v_add_f64_e64 v[70:71], v[2:3], -v[4:5]
	v_add_f64_e32 v[80:81], v[80:81], v[86:87]
	;; [unrolled: 2-line block ×4, first 2 shown]
	v_add_f64_e32 v[0:1], v[174:175], v[106:107]
	v_add_f64_e32 v[2:3], v[121:122], v[104:105]
	;; [unrolled: 1-line block ×5, first 2 shown]
	v_add_f64_e64 v[82:83], v[82:83], -v[14:15]
	v_add_f64_e64 v[4:5], v[174:175], -v[106:107]
	;; [unrolled: 1-line block ×5, first 2 shown]
	v_add_f64_e32 v[106:107], v[10:11], v[0:1]
	v_add_f64_e32 v[108:109], v[12:13], v[2:3]
	v_add_f64_e64 v[110:111], v[10:11], -v[0:1]
	v_add_f64_e64 v[112:113], v[12:13], -v[2:3]
	;; [unrolled: 1-line block ×6, first 2 shown]
	v_add_f64_e32 v[12:13], v[98:99], v[14:15]
	v_add_f64_e32 v[116:117], v[104:105], v[92:93]
	v_add_f64_e64 v[118:119], v[98:99], -v[14:15]
	v_add_f64_e64 v[121:122], v[104:105], -v[92:93]
	;; [unrolled: 1-line block ×6, first 2 shown]
	v_add_f64_e32 v[94:95], v[94:95], v[106:107]
	v_add_f64_e32 v[96:97], v[96:97], v[108:109]
	v_mul_f64_e32 v[0:1], s[30:31], v[0:1]
	v_mul_f64_e32 v[2:3], s[30:31], v[2:3]
	;; [unrolled: 1-line block ×4, first 2 shown]
	v_add_f64_e32 v[4:5], v[12:13], v[4:5]
	v_add_f64_e32 v[6:7], v[116:117], v[6:7]
	v_mul_f64_e32 v[116:117], s[26:27], v[118:119]
	v_mul_f64_e32 v[118:119], s[26:27], v[121:122]
	;; [unrolled: 1-line block ×4, first 2 shown]
	v_add_f64_e32 v[12:13], v[197:198], v[94:95]
	v_add_f64_e32 v[14:15], v[199:200], v[96:97]
	v_fma_f64 v[10:11], v[10:11], s[14:15], v[0:1]
	v_fma_f64 v[114:115], v[114:115], s[14:15], v[2:3]
	v_fma_f64 v[106:107], v[110:111], s[18:19], -v[106:107]
	v_fma_f64 v[108:109], v[112:113], s[18:19], -v[108:109]
	v_fma_f64 v[0:1], v[110:111], s[20:21], -v[0:1]
	v_fma_f64 v[2:3], v[112:113], s[20:21], -v[2:3]
	v_fma_f64 v[110:111], v[98:99], s[16:17], v[116:117]
	v_fma_f64 v[112:113], v[104:105], s[16:17], v[118:119]
	v_fma_f64 v[116:117], v[124:125], s[28:29], -v[116:117]
	v_fma_f64 v[92:93], v[92:93], s[28:29], -v[118:119]
	v_fma_f64 v[98:99], v[98:99], s[22:23], v[121:122]
	v_fma_f64 v[104:105], v[104:105], s[22:23], v[126:127]
	;; [unrolled: 1-line block ×8, first 2 shown]
	v_add_f64_e32 v[10:11], v[10:11], v[94:95]
	v_add_f64_e32 v[118:119], v[114:115], v[96:97]
	v_add_f64_e32 v[114:115], v[106:107], v[94:95]
	v_add_f64_e32 v[121:122], v[108:109], v[96:97]
	v_add_f64_e32 v[0:1], v[0:1], v[94:95]
	v_add_f64_e32 v[2:3], v[2:3], v[96:97]
	v_fma_f64 v[108:109], v[6:7], s[8:9], v[92:93]
	v_fma_f64 v[6:7], v[6:7], s[8:9], v[104:105]
	v_add_f64_e32 v[96:97], v[126:127], v[10:11]
	v_add_f64_e64 v[116:117], v[10:11], -v[126:127]
	v_add_f64_e32 v[10:11], v[186:187], v[152:153]
	v_add_f64_e32 v[106:107], v[110:111], v[121:122]
	v_add_f64_e64 v[110:111], v[121:122], -v[110:111]
	v_add_f64_e64 v[94:95], v[2:3], -v[4:5]
	v_add_f64_e64 v[104:105], v[114:115], -v[108:109]
	v_add_f64_e32 v[92:93], v[6:7], v[0:1]
	v_add_f64_e32 v[108:109], v[108:109], v[114:115]
	v_add_f64_e64 v[112:113], v[0:1], -v[6:7]
	v_add_f64_e32 v[114:115], v[4:5], v[2:3]
	v_add_f64_e32 v[0:1], v[180:181], v[148:149]
	;; [unrolled: 1-line block ×4, first 2 shown]
	v_add_f64_e64 v[98:99], v[118:119], -v[124:125]
	v_add_f64_e32 v[118:119], v[124:125], v[118:119]
	v_add_f64_e64 v[4:5], v[180:181], -v[148:149]
	v_add_f64_e64 v[6:7], v[176:177], -v[138:139]
	;; [unrolled: 1-line block ×4, first 2 shown]
	v_add_f64_e32 v[152:153], v[156:157], v[232:233]
	v_add_f64_e64 v[156:157], v[232:233], -v[156:157]
	v_add_f64_e32 v[136:137], v[10:11], v[0:1]
	v_add_f64_e64 v[140:141], v[10:11], -v[0:1]
	;; [unrolled: 2-line block ×3, first 2 shown]
	v_add_f64_e64 v[0:1], v[0:1], -v[128:129]
	v_add_f64_e64 v[2:3], v[2:3], -v[130:131]
	;; [unrolled: 1-line block ×4, first 2 shown]
	v_add_f64_e32 v[144:145], v[132:133], v[124:125]
	v_add_f64_e32 v[146:147], v[134:135], v[126:127]
	v_add_f64_e64 v[148:149], v[132:133], -v[124:125]
	v_add_f64_e64 v[150:151], v[134:135], -v[126:127]
	;; [unrolled: 1-line block ×6, first 2 shown]
	v_add_f64_e32 v[128:129], v[128:129], v[136:137]
	v_add_f64_e32 v[130:131], v[130:131], v[138:139]
	v_mul_f64_e32 v[0:1], s[30:31], v[0:1]
	v_mul_f64_e32 v[2:3], s[30:31], v[2:3]
	;; [unrolled: 1-line block ×4, first 2 shown]
	v_add_f64_e32 v[4:5], v[144:145], v[4:5]
	v_add_f64_e32 v[6:7], v[146:147], v[6:7]
	v_mul_f64_e32 v[144:145], s[26:27], v[148:149]
	v_mul_f64_e32 v[146:147], s[26:27], v[150:151]
	;; [unrolled: 1-line block ×4, first 2 shown]
	v_add_f64_e32 v[172:173], v[204:205], v[128:129]
	v_add_f64_e32 v[174:175], v[206:207], v[130:131]
	v_fma_f64 v[10:11], v[10:11], s[14:15], v[0:1]
	v_fma_f64 v[121:122], v[121:122], s[14:15], v[2:3]
	v_fma_f64 v[136:137], v[140:141], s[18:19], -v[136:137]
	v_fma_f64 v[138:139], v[142:143], s[18:19], -v[138:139]
	;; [unrolled: 1-line block ×4, first 2 shown]
	v_fma_f64 v[140:141], v[132:133], s[16:17], v[144:145]
	v_fma_f64 v[142:143], v[134:135], s[16:17], v[146:147]
	v_fma_f64 v[124:125], v[124:125], s[28:29], -v[144:145]
	v_fma_f64 v[126:127], v[126:127], s[28:29], -v[146:147]
	v_fma_f64 v[132:133], v[132:133], s[22:23], v[148:149]
	v_fma_f64 v[134:135], v[134:135], s[22:23], v[150:151]
	s_clause 0x1
	scratch_load_b64 v[148:149], off, off offset:1264 th:TH_LOAD_LU
	scratch_load_b64 v[150:151], off, off offset:1368 th:TH_LOAD_LU
	v_fma_f64 v[128:129], v[128:129], s[24:25], v[172:173]
	v_fma_f64 v[130:131], v[130:131], s[24:25], v[174:175]
	;; [unrolled: 1-line block ×8, first 2 shown]
	v_add_f64_e32 v[136:137], v[136:137], v[128:129]
	v_add_f64_e32 v[10:11], v[10:11], v[128:129]
	;; [unrolled: 1-line block ×6, first 2 shown]
	v_add_f64_e64 v[132:133], v[136:137], -v[142:143]
	v_add_f64_e32 v[136:137], v[142:143], v[136:137]
	v_add_f64_e64 v[126:127], v[2:3], -v[4:5]
	v_add_f64_e32 v[142:143], v[4:5], v[2:3]
	scratch_load_b64 v[4:5], off, off offset:1360 th:TH_LOAD_LU ; 8-byte Folded Reload
	v_add_f64_e32 v[128:129], v[144:145], v[10:11]
	v_add_f64_e64 v[130:131], v[121:122], -v[146:147]
	v_add_f64_e32 v[124:125], v[6:7], v[0:1]
	v_add_f64_e32 v[134:135], v[140:141], v[138:139]
	v_add_f64_e64 v[138:139], v[138:139], -v[140:141]
	v_add_f64_e64 v[140:141], v[0:1], -v[6:7]
	;; [unrolled: 1-line block ×3, first 2 shown]
	v_add_f64_e32 v[146:147], v[146:147], v[121:122]
	v_add_f64_e32 v[2:3], v[244:245], v[190:191]
	v_add_f64_e64 v[6:7], v[244:245], -v[190:191]
	s_wait_loadcnt 0x2
	v_add_f64_e32 v[10:11], v[148:149], v[202:203]
	s_wait_loadcnt 0x1
	v_add_f64_e32 v[121:122], v[150:151], v[194:195]
	v_add_f64_e64 v[148:149], v[148:149], -v[202:203]
	v_add_f64_e64 v[150:151], v[150:151], -v[194:195]
	s_delay_alu instid0(VALU_DEP_3)
	v_add_f64_e32 v[162:163], v[121:122], v[2:3]
	v_add_f64_e64 v[166:167], v[121:122], -v[2:3]
	v_add_f64_e64 v[2:3], v[2:3], -v[154:155]
	;; [unrolled: 1-line block ×3, first 2 shown]
	v_add_f64_e32 v[168:169], v[156:157], v[148:149]
	v_add_f64_e32 v[170:171], v[158:159], v[150:151]
	v_add_f64_e64 v[176:177], v[156:157], -v[148:149]
	v_add_f64_e64 v[178:179], v[158:159], -v[150:151]
	;; [unrolled: 1-line block ×4, first 2 shown]
	v_add_f64_e32 v[154:155], v[154:155], v[162:163]
	v_mul_f64_e32 v[2:3], s[30:31], v[2:3]
	v_add_f64_e32 v[162:163], v[170:171], v[6:7]
	v_mul_f64_e32 v[170:171], s[14:15], v[121:122]
	v_mul_f64_e32 v[176:177], s[26:27], v[176:177]
	v_mul_f64_e32 v[178:179], s[26:27], v[178:179]
	v_mul_f64_e32 v[182:183], s[10:11], v[150:151]
	s_wait_loadcnt 0x0
	v_add_f64_e32 v[0:1], v[4:5], v[192:193]
	v_add_f64_e64 v[4:5], v[4:5], -v[192:193]
	v_add_f64_e32 v[6:7], v[218:219], v[154:155]
	v_fma_f64 v[121:122], v[121:122], s[14:15], v[2:3]
	v_fma_f64 v[2:3], v[166:167], s[20:21], -v[2:3]
	v_fma_f64 v[170:171], v[166:167], s[18:19], -v[170:171]
	v_fma_f64 v[166:167], v[158:159], s[16:17], v[178:179]
	v_fma_f64 v[150:151], v[150:151], s[28:29], -v[178:179]
	v_fma_f64 v[158:159], v[158:159], s[22:23], v[182:183]
	v_add_f64_e32 v[160:161], v[10:11], v[0:1]
	v_add_f64_e64 v[164:165], v[10:11], -v[0:1]
	v_add_f64_e64 v[0:1], v[0:1], -v[152:153]
	;; [unrolled: 1-line block ×5, first 2 shown]
	v_fma_f64 v[154:155], v[154:155], s[24:25], v[6:7]
	v_fma_f64 v[178:179], v[162:163], s[8:9], v[166:167]
	;; [unrolled: 1-line block ×4, first 2 shown]
	v_add_f64_e32 v[152:153], v[152:153], v[160:161]
	v_add_f64_e32 v[160:161], v[168:169], v[4:5]
	v_mul_f64_e32 v[0:1], s[30:31], v[0:1]
	v_mul_f64_e32 v[168:169], s[14:15], v[10:11]
	;; [unrolled: 1-line block ×3, first 2 shown]
	v_fma_f64 v[148:149], v[148:149], s[28:29], -v[176:177]
	v_add_f64_e32 v[121:122], v[121:122], v[154:155]
	v_add_f64_e32 v[170:171], v[170:171], v[154:155]
	;; [unrolled: 1-line block ×4, first 2 shown]
	v_fma_f64 v[10:11], v[10:11], s[14:15], v[0:1]
	v_fma_f64 v[168:169], v[164:165], s[18:19], -v[168:169]
	v_fma_f64 v[0:1], v[164:165], s[20:21], -v[0:1]
	v_fma_f64 v[164:165], v[156:157], s[16:17], v[176:177]
	v_fma_f64 v[156:157], v[156:157], s[22:23], v[180:181]
	;; [unrolled: 1-line block ×3, first 2 shown]
	s_delay_alu instid0(VALU_DEP_3) | instskip(SKIP_1) | instid1(VALU_DEP_4)
	v_fma_f64 v[176:177], v[160:161], s[8:9], v[164:165]
	v_fma_f64 v[164:165], v[160:161], s[8:9], v[148:149]
	;; [unrolled: 1-line block ×3, first 2 shown]
	s_delay_alu instid0(VALU_DEP_4)
	v_add_f64_e32 v[10:11], v[10:11], v[152:153]
	v_add_f64_e32 v[168:169], v[168:169], v[152:153]
	;; [unrolled: 1-line block ×3, first 2 shown]
	v_add_f64_e64 v[154:155], v[121:122], -v[176:177]
	v_add_f64_e32 v[158:159], v[164:165], v[170:171]
	v_add_f64_e64 v[150:151], v[2:3], -v[180:181]
	v_add_f64_e64 v[162:163], v[170:171], -v[164:165]
	v_add_f64_e32 v[170:171], v[176:177], v[121:122]
	v_add_f64_e32 v[152:153], v[178:179], v[10:11]
	v_add_f64_e64 v[156:157], v[168:169], -v[166:167]
	v_add_f64_e32 v[148:149], v[182:183], v[0:1]
	v_add_f64_e32 v[160:161], v[166:167], v[168:169]
	v_add_f64_e64 v[164:165], v[0:1], -v[182:183]
	v_add_f64_e32 v[166:167], v[180:181], v[2:3]
	v_add_f64_e64 v[168:169], v[10:11], -v[178:179]
	s_clause 0xb
	scratch_load_b64 v[10:11], off, off offset:1020 th:TH_LOAD_LU
	scratch_load_b64 v[176:177], off, off offset:1136 th:TH_LOAD_LU
	;; [unrolled: 1-line block ×12, first 2 shown]
	global_wb scope:SCOPE_SE
	s_wait_loadcnt 0x0
	s_wait_storecnt 0x0
	s_barrier_signal -1
	s_barrier_wait -1
	global_inv scope:SCOPE_SE
	ds_store_b128 v196, v[100:103]
	ds_store_b128 v196, v[208:211] offset:784
	ds_store_b128 v196, v[16:19] offset:1568
	;; [unrolled: 1-line block ×13, first 2 shown]
	v_add_f64_e32 v[0:1], v[10:11], v[176:177]
	v_add_f64_e32 v[2:3], v[121:122], v[178:179]
	v_add_f64_e64 v[121:122], v[121:122], -v[178:179]
	v_add_f64_e32 v[178:179], v[182:183], v[186:187]
	v_add_f64_e64 v[10:11], v[10:11], -v[176:177]
	;; [unrolled: 2-line block ×3, first 2 shown]
	v_add_f64_e64 v[182:183], v[182:183], -v[186:187]
	v_add_f64_e32 v[184:185], v[188:189], v[192:193]
	v_add_f64_e32 v[186:187], v[190:191], v[194:195]
	v_add_f64_e64 v[188:189], v[192:193], -v[188:189]
	v_add_f64_e64 v[190:191], v[194:195], -v[190:191]
	v_add_f64_e32 v[194:195], v[178:179], v[2:3]
	v_add_f64_e64 v[199:200], v[178:179], -v[2:3]
	v_add_f64_e32 v[192:193], v[176:177], v[0:1]
	v_add_f64_e64 v[197:198], v[176:177], -v[0:1]
	v_add_f64_e64 v[201:202], v[0:1], -v[184:185]
	;; [unrolled: 1-line block ×5, first 2 shown]
	v_add_f64_e32 v[0:1], v[188:189], v[180:181]
	v_add_f64_e32 v[2:3], v[190:191], v[182:183]
	v_add_f64_e64 v[206:207], v[188:189], -v[180:181]
	v_add_f64_e64 v[212:213], v[190:191], -v[182:183]
	;; [unrolled: 1-line block ×6, first 2 shown]
	v_add_f64_e32 v[186:187], v[186:187], v[194:195]
	v_add_f64_e32 v[184:185], v[184:185], v[192:193]
	v_mul_f64_e32 v[192:193], s[30:31], v[201:202]
	v_mul_f64_e32 v[194:195], s[30:31], v[204:205]
	;; [unrolled: 1-line block ×4, first 2 shown]
	v_add_f64_e32 v[10:11], v[0:1], v[10:11]
	v_add_f64_e32 v[121:122], v[2:3], v[121:122]
	v_mul_f64_e32 v[206:207], s[26:27], v[206:207]
	v_mul_f64_e32 v[212:213], s[26:27], v[212:213]
	;; [unrolled: 1-line block ×4, first 2 shown]
	v_add_f64_e32 v[2:3], v[242:243], v[186:187]
	v_add_f64_e32 v[0:1], v[240:241], v[184:185]
	v_fma_f64 v[176:177], v[176:177], s[14:15], v[192:193]
	v_fma_f64 v[178:179], v[178:179], s[14:15], v[194:195]
	v_fma_f64 v[201:202], v[197:198], s[18:19], -v[201:202]
	v_fma_f64 v[204:205], v[199:200], s[18:19], -v[204:205]
	;; [unrolled: 1-line block ×4, first 2 shown]
	v_fma_f64 v[197:198], v[188:189], s[16:17], v[206:207]
	v_fma_f64 v[199:200], v[190:191], s[16:17], v[212:213]
	v_fma_f64 v[180:181], v[180:181], s[28:29], -v[206:207]
	v_fma_f64 v[188:189], v[188:189], s[22:23], v[214:215]
	v_fma_f64 v[182:183], v[182:183], s[28:29], -v[212:213]
	v_fma_f64 v[190:191], v[190:191], s[22:23], v[216:217]
	v_fma_f64 v[186:187], v[186:187], s[24:25], v[2:3]
	;; [unrolled: 1-line block ×9, first 2 shown]
	v_add_f64_e32 v[194:195], v[194:195], v[186:187]
	v_add_f64_e32 v[204:205], v[204:205], v[186:187]
	;; [unrolled: 1-line block ×6, first 2 shown]
	v_add_f64_e64 v[182:183], v[194:195], -v[10:11]
	v_add_f64_e32 v[194:195], v[10:11], v[194:195]
	scratch_load_b32 v10, off, off offset:796 th:TH_LOAD_LU ; 4-byte Folded Reload
	v_add_f64_e32 v[176:177], v[197:198], v[206:207]
	v_add_f64_e32 v[186:187], v[199:200], v[204:205]
	v_add_f64_e64 v[190:191], v[204:205], -v[199:200]
	v_add_f64_e64 v[198:199], v[206:207], -v[197:198]
	v_add_f64_e64 v[178:179], v[212:213], -v[214:215]
	v_add_f64_e32 v[180:181], v[121:122], v[192:193]
	v_add_f64_e64 v[184:185], v[201:202], -v[216:217]
	v_add_f64_e32 v[188:189], v[216:217], v[201:202]
	v_add_f64_e64 v[192:193], v[192:193], -v[121:122]
	v_add_f64_e32 v[200:201], v[214:215], v[212:213]
	s_wait_loadcnt 0x0
	v_lshlrev_b32_e32 v197, 4, v10
	ds_store_b128 v197, v[48:51] offset:10976
	ds_store_b128 v197, v[72:75] offset:11760
	;; [unrolled: 1-line block ×7, first 2 shown]
	scratch_load_b32 v10, off, off offset:812 th:TH_LOAD_LU ; 4-byte Folded Reload
	s_wait_loadcnt 0x0
	v_lshlrev_b32_e32 v10, 4, v10
	scratch_store_b32 off, v10, off offset:2508 ; 4-byte Folded Spill
	ds_store_b128 v10, v[12:15] offset:16464
	ds_store_b128 v10, v[96:99] offset:17248
	;; [unrolled: 1-line block ×7, first 2 shown]
	scratch_load_b32 v10, off, off offset:828 th:TH_LOAD_LU ; 4-byte Folded Reload
	s_wait_loadcnt 0x0
	v_lshlrev_b32_e32 v10, 4, v10
	scratch_store_b32 off, v10, off offset:1984 ; 4-byte Folded Spill
	ds_store_b128 v10, v[172:175] offset:21952
	ds_store_b128 v10, v[128:131] offset:22736
	ds_store_b128 v10, v[124:127] offset:23520
	ds_store_b128 v10, v[132:135] offset:24304
	ds_store_b128 v10, v[136:139] offset:25088
	ds_store_b128 v10, v[140:143] offset:25872
	ds_store_b128 v10, v[144:147] offset:26656
	v_and_b32_e32 v10, 0xffff, v120
	s_delay_alu instid0(VALU_DEP_1)
	v_lshlrev_b32_e32 v10, 4, v10
	scratch_store_b32 off, v10, off offset:1360 ; 4-byte Folded Spill
	ds_store_b128 v10, v[4:7] offset:27440
	ds_store_b128 v10, v[152:155] offset:28224
	;; [unrolled: 1-line block ×7, first 2 shown]
	v_and_b32_e32 v4, 0xffff, v123
	s_delay_alu instid0(VALU_DEP_1)
	v_lshlrev_b32_e32 v4, 4, v4
	scratch_store_b32 off, v4, off offset:796 ; 4-byte Folded Spill
	ds_store_b128 v4, v[0:3] offset:32928
	ds_store_b128 v4, v[176:179] offset:33712
	;; [unrolled: 1-line block ×7, first 2 shown]
	global_wb scope:SCOPE_SE
	s_wait_storecnt_dscnt 0x0
	s_barrier_signal -1
	s_barrier_wait -1
	global_inv scope:SCOPE_SE
	ds_load_b128 v[216:219], v196
	ds_load_b128 v[192:195], v196 offset:5488
	ds_load_b128 v[188:191], v196 offset:10976
	;; [unrolled: 1-line block ×42, first 2 shown]
	s_wait_dscnt 0x0
	scratch_store_b128 off, v[0:3], off offset:2768 ; 16-byte Folded Spill
	ds_load_b128 v[44:47], v196 offset:10192
	ds_load_b128 v[36:39], v196 offset:15680
	ds_load_b128 v[32:35], v196 offset:21168
	ds_load_b128 v[24:27], v196 offset:26656
	ds_load_b128 v[20:23], v196 offset:32144
	ds_load_b128 v[16:19], v196 offset:37632
	s_clause 0x3
	global_load_b128 v[2:5], v[8:9], off offset:5424
	global_load_b128 v[10:13], v[8:9], off offset:5408
	;; [unrolled: 1-line block ×4, first 2 shown]
	s_wait_loadcnt 0x3
	scratch_store_b128 off, v[2:5], off offset:860 ; 16-byte Folded Spill
	s_wait_loadcnt 0x2
	scratch_store_b128 off, v[10:13], off offset:844 ; 16-byte Folded Spill
	s_wait_loadcnt 0x0
	v_mul_f64_e32 v[0:1], v[194:195], v[50:51]
	scratch_store_b128 off, v[48:51], off offset:812 ; 16-byte Folded Spill
	v_fma_f64 v[30:31], v[192:193], v[48:49], -v[0:1]
	v_mul_f64_e32 v[0:1], v[192:193], v[50:51]
	s_delay_alu instid0(VALU_DEP_1) | instskip(SKIP_2) | instid1(VALU_DEP_2)
	v_fma_f64 v[14:15], v[194:195], v[48:49], v[0:1]
	v_dual_mov_b32 v51, v43 :: v_dual_mov_b32 v50, v42
	v_dual_mov_b32 v49, v41 :: v_dual_mov_b32 v48, v40
	v_mul_f64_e32 v[0:1], v[190:191], v[50:51]
	scratch_store_b128 off, v[48:51], off offset:828 ; 16-byte Folded Spill
	v_fma_f64 v[42:43], v[188:189], v[48:49], -v[0:1]
	v_mul_f64_e32 v[0:1], v[188:189], v[50:51]
	s_delay_alu instid0(VALU_DEP_1) | instskip(SKIP_1) | instid1(VALU_DEP_1)
	v_fma_f64 v[28:29], v[190:191], v[48:49], v[0:1]
	v_mul_f64_e32 v[0:1], v[186:187], v[12:13]
	v_fma_f64 v[48:49], v[184:185], v[10:11], -v[0:1]
	v_mul_f64_e32 v[0:1], v[184:185], v[12:13]
	s_delay_alu instid0(VALU_DEP_1) | instskip(SKIP_1) | instid1(VALU_DEP_1)
	v_fma_f64 v[40:41], v[186:187], v[10:11], v[0:1]
	v_mul_f64_e32 v[0:1], v[182:183], v[4:5]
	v_fma_f64 v[12:13], v[180:181], v[2:3], -v[0:1]
	v_mul_f64_e32 v[0:1], v[180:181], v[4:5]
	s_delay_alu instid0(VALU_DEP_1)
	v_fma_f64 v[10:11], v[182:183], v[2:3], v[0:1]
	s_clause 0x1
	global_load_b128 v[180:183], v[8:9], off offset:5456
	global_load_b128 v[2:5], v[8:9], off offset:5440
	s_wait_loadcnt 0x1
	scratch_store_b128 off, v[180:183], off offset:892 ; 16-byte Folded Spill
	s_wait_loadcnt 0x0
	v_mul_f64_e32 v[0:1], v[178:179], v[4:5]
	scratch_store_b128 off, v[2:5], off offset:876 ; 16-byte Folded Spill
	v_fma_f64 v[8:9], v[176:177], v[2:3], -v[0:1]
	v_mul_f64_e32 v[0:1], v[176:177], v[4:5]
	s_delay_alu instid0(VALU_DEP_1) | instskip(SKIP_1) | instid1(VALU_DEP_1)
	v_fma_f64 v[6:7], v[178:179], v[2:3], v[0:1]
	v_mul_f64_e32 v[0:1], v[174:175], v[182:183]
	v_fma_f64 v[4:5], v[172:173], v[180:181], -v[0:1]
	v_mul_f64_e32 v[0:1], v[172:173], v[182:183]
	s_delay_alu instid0(VALU_DEP_1)
	v_fma_f64 v[2:3], v[174:175], v[180:181], v[0:1]
	scratch_load_b32 v0, off, off offset:924 th:TH_LOAD_LU ; 4-byte Folded Reload
	s_wait_loadcnt 0x0
	v_mad_co_u64_u32 v[0:1], null, 0x60, v0, s[6:7]
	s_clause 0x3
	global_load_b128 v[174:177], v[0:1], off offset:5424
	global_load_b128 v[178:181], v[0:1], off offset:5408
	;; [unrolled: 1-line block ×4, first 2 shown]
	s_mul_u64 s[6:7], s[0:1], 0x1570
	s_wait_loadcnt 0x3
	scratch_store_b128 off, v[174:177], off offset:1020 ; 16-byte Folded Spill
	s_wait_loadcnt 0x2
	scratch_store_b128 off, v[178:181], off offset:988 ; 16-byte Folded Spill
	s_wait_loadcnt 0x1
	scratch_store_b128 off, v[182:185], off offset:956 ; 16-byte Folded Spill
	s_wait_loadcnt 0x0
	v_mul_f64_e32 v[50:51], v[170:171], v[188:189]
	scratch_store_b128 off, v[186:189], off offset:924 ; 16-byte Folded Spill
	v_fma_f64 v[172:173], v[168:169], v[186:187], -v[50:51]
	v_mul_f64_e32 v[50:51], v[168:169], v[188:189]
	s_delay_alu instid0(VALU_DEP_1) | instskip(SKIP_1) | instid1(VALU_DEP_1)
	v_fma_f64 v[168:169], v[170:171], v[186:187], v[50:51]
	v_mul_f64_e32 v[50:51], v[166:167], v[184:185]
	v_fma_f64 v[254:255], v[164:165], v[182:183], -v[50:51]
	v_mul_f64_e32 v[50:51], v[164:165], v[184:185]
	s_delay_alu instid0(VALU_DEP_1) | instskip(SKIP_1) | instid1(VALU_DEP_1)
	v_fma_f64 v[164:165], v[166:167], v[182:183], v[50:51]
	v_mul_f64_e32 v[50:51], v[162:163], v[180:181]
	v_fma_f64 v[166:167], v[160:161], v[178:179], -v[50:51]
	v_mul_f64_e32 v[50:51], v[160:161], v[180:181]
	s_delay_alu instid0(VALU_DEP_1) | instskip(SKIP_1) | instid1(VALU_DEP_1)
	v_fma_f64 v[162:163], v[162:163], v[178:179], v[50:51]
	v_mul_f64_e32 v[50:51], v[158:159], v[176:177]
	v_fma_f64 v[160:161], v[156:157], v[174:175], -v[50:51]
	v_mul_f64_e32 v[50:51], v[156:157], v[176:177]
	s_delay_alu instid0(VALU_DEP_1)
	v_fma_f64 v[158:159], v[158:159], v[174:175], v[50:51]
	s_clause 0x1
	global_load_b128 v[174:177], v[0:1], off offset:5456
	global_load_b128 v[178:181], v[0:1], off offset:5440
	s_wait_loadcnt 0x1
	scratch_store_b128 off, v[174:177], off offset:1084 ; 16-byte Folded Spill
	s_wait_loadcnt 0x0
	v_mul_f64_e32 v[50:51], v[154:155], v[180:181]
	scratch_store_b128 off, v[178:181], off offset:1068 ; 16-byte Folded Spill
	v_fma_f64 v[156:157], v[152:153], v[178:179], -v[50:51]
	v_mul_f64_e32 v[50:51], v[152:153], v[180:181]
	s_delay_alu instid0(VALU_DEP_1) | instskip(SKIP_1) | instid1(VALU_DEP_1)
	v_fma_f64 v[154:155], v[154:155], v[178:179], v[50:51]
	v_mul_f64_e32 v[50:51], v[150:151], v[176:177]
	v_fma_f64 v[152:153], v[148:149], v[174:175], -v[50:51]
	v_mul_f64_e32 v[50:51], v[148:149], v[176:177]
	s_delay_alu instid0(VALU_DEP_1)
	v_fma_f64 v[50:51], v[150:151], v[174:175], v[50:51]
	s_clause 0x3
	global_load_b128 v[174:177], v[0:1], off offset:10128
	global_load_b128 v[178:181], v[0:1], off offset:10112
	global_load_b128 v[182:185], v[0:1], off offset:10096
	global_load_b128 v[186:189], v[0:1], off offset:10080
	s_wait_loadcnt 0x3
	scratch_store_b128 off, v[174:177], off offset:1168 ; 16-byte Folded Spill
	s_wait_loadcnt 0x2
	scratch_store_b128 off, v[178:181], off offset:1152 ; 16-byte Folded Spill
	s_wait_loadcnt 0x1
	scratch_store_b128 off, v[182:185], off offset:1136 ; 16-byte Folded Spill
	s_wait_loadcnt 0x0
	v_mul_f64_e32 v[148:149], v[146:147], v[188:189]
	scratch_store_b128 off, v[186:189], off offset:1120 ; 16-byte Folded Spill
	v_fma_f64 v[226:227], v[144:145], v[186:187], -v[148:149]
	v_mul_f64_e32 v[144:145], v[144:145], v[188:189]
	s_delay_alu instid0(VALU_DEP_1) | instskip(SKIP_1) | instid1(VALU_DEP_1)
	v_fma_f64 v[232:233], v[146:147], v[186:187], v[144:145]
	v_mul_f64_e32 v[144:145], v[142:143], v[184:185]
	v_fma_f64 v[144:145], v[140:141], v[182:183], -v[144:145]
	v_mul_f64_e32 v[140:141], v[140:141], v[184:185]
	s_delay_alu instid0(VALU_DEP_1) | instskip(SKIP_1) | instid1(VALU_DEP_1)
	v_fma_f64 v[224:225], v[142:143], v[182:183], v[140:141]
	v_mul_f64_e32 v[140:141], v[138:139], v[180:181]
	v_fma_f64 v[140:141], v[136:137], v[178:179], -v[140:141]
	v_mul_f64_e32 v[136:137], v[136:137], v[180:181]
	s_delay_alu instid0(VALU_DEP_1) | instskip(SKIP_1) | instid1(VALU_DEP_1)
	v_fma_f64 v[136:137], v[138:139], v[178:179], v[136:137]
	v_mul_f64_e32 v[138:139], v[134:135], v[176:177]
	v_fma_f64 v[234:235], v[132:133], v[174:175], -v[138:139]
	v_mul_f64_e32 v[132:133], v[132:133], v[176:177]
	s_delay_alu instid0(VALU_DEP_1)
	v_fma_f64 v[240:241], v[134:135], v[174:175], v[132:133]
	s_clause 0x1
	global_load_b128 v[146:149], v[0:1], off offset:10160
	global_load_b128 v[174:177], v[0:1], off offset:10144
	s_wait_loadcnt 0x1
	scratch_store_b128 off, v[146:149], off offset:1264 ; 16-byte Folded Spill
	s_wait_loadcnt 0x0
	v_mul_f64_e32 v[132:133], v[130:131], v[176:177]
	scratch_store_b128 off, v[174:177], off offset:1248 ; 16-byte Folded Spill
	v_fma_f64 v[242:243], v[128:129], v[174:175], -v[132:133]
	v_mul_f64_e32 v[128:129], v[128:129], v[176:177]
	s_delay_alu instid0(VALU_DEP_1) | instskip(SKIP_1) | instid1(VALU_DEP_1)
	v_fma_f64 v[244:245], v[130:131], v[174:175], v[128:129]
	v_mul_f64_e32 v[128:129], v[126:127], v[148:149]
	v_fma_f64 v[246:247], v[124:125], v[146:147], -v[128:129]
	v_mul_f64_e32 v[124:125], v[124:125], v[148:149]
	s_delay_alu instid0(VALU_DEP_1)
	v_fma_f64 v[248:249], v[126:127], v[146:147], v[124:125]
	s_clause 0x3
	global_load_b128 v[126:129], v[0:1], off offset:14832
	global_load_b128 v[130:133], v[0:1], off offset:14816
	global_load_b128 v[146:149], v[0:1], off offset:14800
	global_load_b128 v[174:177], v[0:1], off offset:14784
	;; [unrolled: 50-line block ×3, first 2 shown]
	s_wait_loadcnt 0x3
	scratch_store_b128 off, v[126:129], off offset:1676 ; 16-byte Folded Spill
	s_wait_loadcnt 0x1
	scratch_store_b128 off, v[146:149], off offset:1640 ; 16-byte Folded Spill
	s_wait_loadcnt 0x0
	v_mul_f64_e32 v[102:103], v[98:99], v[180:181]
	scratch_store_b128 off, v[178:181], off offset:1624 ; 16-byte Folded Spill
	v_fma_f64 v[132:133], v[96:97], v[178:179], -v[102:103]
	v_mul_f64_e32 v[96:97], v[96:97], v[180:181]
	v_add_f64_e32 v[102:103], v[112:113], v[108:109]
	s_delay_alu instid0(VALU_DEP_2) | instskip(SKIP_1) | instid1(VALU_DEP_1)
	v_fma_f64 v[134:135], v[98:99], v[178:179], v[96:97]
	v_mul_f64_e32 v[96:97], v[94:95], v[148:149]
	v_fma_f64 v[170:171], v[92:93], v[146:147], -v[96:97]
	v_mul_f64_e32 v[92:93], v[92:93], v[148:149]
	s_delay_alu instid0(VALU_DEP_1) | instskip(SKIP_3) | instid1(VALU_DEP_2)
	v_fma_f64 v[148:149], v[94:95], v[146:147], v[92:93]
	v_mov_b32_e32 v94, v174
	v_dual_mov_b32 v96, v176 :: v_dual_mov_b32 v97, v177
	v_mov_b32_e32 v95, v175
	v_mul_f64_e32 v[92:93], v[90:91], v[96:97]
	scratch_store_b128 off, v[94:97], off offset:1660 ; 16-byte Folded Spill
	v_fma_f64 v[174:175], v[88:89], v[94:95], -v[92:93]
	v_mul_f64_e32 v[88:89], v[88:89], v[96:97]
	s_delay_alu instid0(VALU_DEP_1) | instskip(SKIP_1) | instid1(VALU_DEP_1)
	v_fma_f64 v[150:151], v[90:91], v[94:95], v[88:89]
	v_mul_f64_e32 v[88:89], v[86:87], v[128:129]
	v_fma_f64 v[130:131], v[84:85], v[126:127], -v[88:89]
	v_mul_f64_e32 v[84:85], v[84:85], v[128:129]
	s_delay_alu instid0(VALU_DEP_1)
	v_fma_f64 v[138:139], v[86:87], v[126:127], v[84:85]
	s_clause 0x1
	global_load_b128 v[86:89], v[0:1], off offset:19568
	global_load_b128 v[90:93], v[0:1], off offset:19552
	s_wait_loadcnt 0x1
	scratch_store_b128 off, v[86:89], off offset:1740 ; 16-byte Folded Spill
	s_wait_loadcnt 0x0
	v_mul_f64_e32 v[84:85], v[82:83], v[92:93]
	scratch_store_b128 off, v[90:93], off offset:1724 ; 16-byte Folded Spill
	v_fma_f64 v[128:129], v[80:81], v[90:91], -v[84:85]
	v_mul_f64_e32 v[80:81], v[80:81], v[92:93]
	s_delay_alu instid0(VALU_DEP_1) | instskip(SKIP_1) | instid1(VALU_DEP_1)
	v_fma_f64 v[142:143], v[82:83], v[90:91], v[80:81]
	v_mul_f64_e32 v[80:81], v[78:79], v[88:89]
	v_fma_f64 v[126:127], v[76:77], v[86:87], -v[80:81]
	v_mul_f64_e32 v[76:77], v[76:77], v[88:89]
	s_delay_alu instid0(VALU_DEP_1)
	v_fma_f64 v[146:147], v[78:79], v[86:87], v[76:77]
	s_clause 0x3
	global_load_b128 v[78:81], v[0:1], off offset:24240
	global_load_b128 v[82:85], v[0:1], off offset:24224
	;; [unrolled: 1-line block ×4, first 2 shown]
	s_wait_loadcnt 0x2
	scratch_store_b128 off, v[82:85], off offset:1952 ; 16-byte Folded Spill
	s_wait_loadcnt 0x1
	scratch_store_b128 off, v[86:89], off offset:1920 ; 16-byte Folded Spill
	s_wait_loadcnt 0x0
	v_mul_f64_e32 v[76:77], v[74:75], v[92:93]
	scratch_store_b128 off, v[90:93], off offset:1888 ; 16-byte Folded Spill
	v_fma_f64 v[192:193], v[72:73], v[90:91], -v[76:77]
	v_mul_f64_e32 v[72:73], v[72:73], v[92:93]
	v_add_f64_e64 v[76:77], v[234:235], -v[140:141]
	s_delay_alu instid0(VALU_DEP_2) | instskip(SKIP_1) | instid1(VALU_DEP_1)
	v_fma_f64 v[188:189], v[74:75], v[90:91], v[72:73]
	v_mul_f64_e32 v[72:73], v[70:71], v[88:89]
	v_fma_f64 v[194:195], v[68:69], v[86:87], -v[72:73]
	v_mul_f64_e32 v[68:69], v[68:69], v[88:89]
	s_delay_alu instid0(VALU_DEP_1) | instskip(SKIP_1) | instid1(VALU_DEP_1)
	v_fma_f64 v[190:191], v[70:71], v[86:87], v[68:69]
	v_mul_f64_e32 v[68:69], v[66:67], v[84:85]
	v_fma_f64 v[68:69], v[64:65], v[82:83], -v[68:69]
	v_mul_f64_e32 v[64:65], v[64:65], v[84:85]
	scratch_store_b64 off, v[68:69], off offset:2872 ; 8-byte Folded Spill
	v_fma_f64 v[64:65], v[66:67], v[82:83], v[64:65]
	s_clause 0x1
	scratch_store_b64 off, v[64:65], off offset:2880
	scratch_store_b128 off, v[78:81], off offset:1968
	v_mul_f64_e32 v[64:65], v[62:63], v[80:81]
	s_delay_alu instid0(VALU_DEP_1) | instskip(SKIP_1) | instid1(VALU_DEP_1)
	v_fma_f64 v[186:187], v[60:61], v[78:79], -v[64:65]
	v_mul_f64_e32 v[60:61], v[60:61], v[80:81]
	v_fma_f64 v[184:185], v[62:63], v[78:79], v[60:61]
	s_clause 0x1
	global_load_b128 v[62:65], v[0:1], off offset:24272
	global_load_b128 v[66:69], v[0:1], off offset:24256
	v_add_f64_e64 v[78:79], v[240:241], -v[136:137]
	s_wait_loadcnt 0x1
	scratch_store_b128 off, v[62:65], off offset:2036 ; 16-byte Folded Spill
	s_wait_loadcnt 0x0
	v_mul_f64_e32 v[60:61], v[58:59], v[68:69]
	scratch_store_b128 off, v[66:69], off offset:2020 ; 16-byte Folded Spill
	v_fma_f64 v[182:183], v[56:57], v[66:67], -v[60:61]
	v_mul_f64_e32 v[56:57], v[56:57], v[68:69]
	s_delay_alu instid0(VALU_DEP_1) | instskip(SKIP_1) | instid1(VALU_DEP_1)
	v_fma_f64 v[180:181], v[58:59], v[66:67], v[56:57]
	v_mul_f64_e32 v[56:57], v[54:55], v[64:65]
	v_fma_f64 v[178:179], v[52:53], v[62:63], -v[56:57]
	v_mul_f64_e32 v[52:53], v[52:53], v[64:65]
	s_delay_alu instid0(VALU_DEP_1)
	v_fma_f64 v[176:177], v[54:55], v[62:63], v[52:53]
	s_clause 0x3
	global_load_b128 v[54:57], v[0:1], off offset:28944
	global_load_b128 v[58:61], v[0:1], off offset:28928
	;; [unrolled: 1-line block ×4, first 2 shown]
	s_wait_loadcnt_dscnt 0x5
	v_mul_f64_e32 v[52:53], v[46:47], v[68:69]
	s_delay_alu instid0(VALU_DEP_1)
	v_fma_f64 v[52:53], v[44:45], v[66:67], -v[52:53]
	v_mul_f64_e32 v[44:45], v[44:45], v[68:69]
	s_clause 0x1
	scratch_store_b64 off, v[52:53], off offset:2824
	scratch_store_b128 off, v[66:69], off offset:2116
	v_fma_f64 v[44:45], v[46:47], v[66:67], v[44:45]
	s_clause 0x1
	scratch_store_b64 off, v[44:45], off offset:2832
	scratch_store_b128 off, v[62:65], off offset:2148
	s_wait_dscnt 0x4
	v_mul_f64_e32 v[44:45], v[38:39], v[64:65]
	s_delay_alu instid0(VALU_DEP_1)
	v_fma_f64 v[44:45], v[36:37], v[62:63], -v[44:45]
	v_mul_f64_e32 v[36:37], v[36:37], v[64:65]
	scratch_store_b64 off, v[44:45], off offset:2792 ; 8-byte Folded Spill
	v_fma_f64 v[36:37], v[38:39], v[62:63], v[36:37]
	s_clause 0x1
	scratch_store_b64 off, v[36:37], off offset:2800
	scratch_store_b128 off, v[58:61], off offset:2180
	s_wait_dscnt 0x3
	v_mul_f64_e32 v[36:37], v[34:35], v[60:61]
	s_delay_alu instid0(VALU_DEP_1) | instskip(SKIP_1) | instid1(VALU_DEP_1)
	v_fma_f64 v[198:199], v[32:33], v[58:59], -v[36:37]
	v_mul_f64_e32 v[32:33], v[32:33], v[60:61]
	v_fma_f64 v[32:33], v[34:35], v[58:59], v[32:33]
	s_clause 0x1
	scratch_store_b64 off, v[32:33], off offset:2784
	scratch_store_b128 off, v[54:57], off offset:2212
	s_wait_dscnt 0x2
	v_mul_f64_e32 v[32:33], v[26:27], v[56:57]
	s_delay_alu instid0(VALU_DEP_1) | instskip(SKIP_1) | instid1(VALU_DEP_1)
	v_fma_f64 v[32:33], v[24:25], v[54:55], -v[32:33]
	v_mul_f64_e32 v[24:25], v[24:25], v[56:57]
	v_fma_f64 v[24:25], v[26:27], v[54:55], v[24:25]
	scratch_store_b64 off, v[32:33], off offset:2808 ; 8-byte Folded Spill
	global_load_b128 v[32:35], v[0:1], off offset:28960
	scratch_store_b64 off, v[24:25], off offset:2816 ; 8-byte Folded Spill
	global_load_b128 v[24:27], v[0:1], off offset:28976
	s_wait_loadcnt_dscnt 0x101
	v_mul_f64_e32 v[0:1], v[22:23], v[34:35]
	scratch_store_b128 off, v[32:35], off offset:2276 ; 16-byte Folded Spill
	s_wait_loadcnt 0x0
	scratch_store_b128 off, v[24:27], off offset:2292 ; 16-byte Folded Spill
	v_fma_f64 v[0:1], v[20:21], v[32:33], -v[0:1]
	scratch_store_b64 off, v[0:1], off offset:2840 ; 8-byte Folded Spill
	v_mul_f64_e32 v[0:1], v[20:21], v[34:35]
	v_add_f64_e32 v[20:21], v[48:49], v[12:13]
	v_add_f64_e64 v[12:13], v[12:13], -v[48:49]
	s_delay_alu instid0(VALU_DEP_3)
	v_fma_f64 v[0:1], v[22:23], v[32:33], v[0:1]
	v_add_f64_e32 v[22:23], v[40:41], v[10:11]
	v_add_f64_e64 v[10:11], v[10:11], -v[40:41]
	scratch_store_b64 off, v[0:1], off offset:2848 ; 8-byte Folded Spill
	s_wait_dscnt 0x0
	v_mul_f64_e32 v[0:1], v[18:19], v[26:27]
	s_delay_alu instid0(VALU_DEP_1)
	v_fma_f64 v[0:1], v[16:17], v[24:25], -v[0:1]
	scratch_store_b64 off, v[0:1], off offset:2856 ; 8-byte Folded Spill
	v_mul_f64_e32 v[0:1], v[16:17], v[26:27]
	v_add_f64_e32 v[16:17], v[14:15], v[2:3]
	v_add_f64_e64 v[2:3], v[14:15], -v[2:3]
	v_add_f64_e32 v[14:15], v[42:43], v[8:9]
	v_add_f64_e64 v[8:9], v[42:43], -v[8:9]
	v_fma_f64 v[0:1], v[18:19], v[24:25], v[0:1]
	v_add_f64_e32 v[18:19], v[28:29], v[6:7]
	v_add_f64_e64 v[6:7], v[28:29], -v[6:7]
	v_add_f64_e64 v[40:41], v[2:3], -v[10:11]
	v_add_f64_e32 v[32:33], v[12:13], v[8:9]
	v_add_f64_e64 v[36:37], v[12:13], -v[8:9]
	scratch_store_b64 off, v[0:1], off offset:2864 ; 8-byte Folded Spill
	v_add_f64_e32 v[0:1], v[30:31], v[4:5]
	v_add_f64_e32 v[26:27], v[18:19], v[16:17]
	v_add_f64_e64 v[4:5], v[30:31], -v[4:5]
	v_add_f64_e64 v[30:31], v[18:19], -v[16:17]
	;; [unrolled: 1-line block ×4, first 2 shown]
	v_add_f64_e32 v[34:35], v[10:11], v[6:7]
	v_add_f64_e64 v[38:39], v[10:11], -v[6:7]
	v_add_f64_e64 v[6:7], v[6:7], -v[2:3]
	v_add_f64_e32 v[24:25], v[14:15], v[0:1]
	v_add_f64_e64 v[28:29], v[14:15], -v[0:1]
	v_add_f64_e64 v[0:1], v[0:1], -v[20:21]
	;; [unrolled: 1-line block ×3, first 2 shown]
	v_add_f64_e32 v[22:23], v[22:23], v[26:27]
	v_add_f64_e64 v[42:43], v[8:9], -v[4:5]
	v_add_f64_e32 v[2:3], v[34:35], v[2:3]
	v_mul_f64_e32 v[16:17], s[30:31], v[16:17]
	v_mul_f64_e32 v[26:27], s[14:15], v[18:19]
	v_mul_f64_e32 v[34:35], s[26:27], v[38:39]
	v_mul_f64_e32 v[38:39], s[10:11], v[6:7]
	v_add_f64_e64 v[12:13], v[4:5], -v[12:13]
	v_add_f64_e32 v[4:5], v[32:33], v[4:5]
	v_mul_f64_e32 v[32:33], s[26:27], v[36:37]
	v_add_f64_e32 v[20:21], v[20:21], v[24:25]
	v_mul_f64_e32 v[0:1], s[30:31], v[0:1]
	v_mul_f64_e32 v[24:25], s[14:15], v[14:15]
	v_add_f64_e32 v[10:11], v[218:219], v[22:23]
	v_mul_f64_e32 v[36:37], s[10:11], v[42:43]
	v_fma_f64 v[18:19], v[18:19], s[14:15], v[16:17]
	v_fma_f64 v[26:27], v[30:31], s[18:19], -v[26:27]
	v_fma_f64 v[16:17], v[30:31], s[20:21], -v[16:17]
	v_fma_f64 v[30:31], v[40:41], s[16:17], v[34:35]
	v_fma_f64 v[6:7], v[6:7], s[28:29], -v[34:35]
	v_fma_f64 v[34:35], v[40:41], s[22:23], v[38:39]
	v_add_f64_e32 v[8:9], v[216:217], v[20:21]
	v_fma_f64 v[14:15], v[14:15], s[14:15], v[0:1]
	v_fma_f64 v[0:1], v[28:29], s[20:21], -v[0:1]
	v_fma_f64 v[22:23], v[22:23], s[24:25], v[10:11]
	v_fma_f64 v[24:25], v[28:29], s[18:19], -v[24:25]
	;; [unrolled: 2-line block ×3, first 2 shown]
	v_fma_f64 v[12:13], v[12:13], s[22:23], v[36:37]
	v_fma_f64 v[6:7], v[2:3], s[8:9], v[6:7]
	;; [unrolled: 1-line block ×3, first 2 shown]
	v_add_f64_e32 v[18:19], v[18:19], v[22:23]
	v_add_f64_e32 v[26:27], v[26:27], v[22:23]
	;; [unrolled: 1-line block ×3, first 2 shown]
	v_fma_f64 v[22:23], v[2:3], s[8:9], v[30:31]
	v_fma_f64 v[2:3], v[2:3], s[8:9], v[34:35]
	v_add_f64_e32 v[14:15], v[14:15], v[20:21]
	v_add_f64_e32 v[0:1], v[0:1], v[20:21]
	;; [unrolled: 1-line block ×3, first 2 shown]
	v_fma_f64 v[20:21], v[4:5], s[8:9], v[28:29]
	v_fma_f64 v[28:29], v[4:5], s[8:9], v[32:33]
	;; [unrolled: 1-line block ×3, first 2 shown]
	v_add_f64_e32 v[12:13], v[254:255], v[156:157]
	v_add_f64_e32 v[60:61], v[22:23], v[14:15]
	;; [unrolled: 1-line block ×3, first 2 shown]
	v_add_f64_e64 v[36:37], v[0:1], -v[2:3]
	v_add_f64_e64 v[32:33], v[14:15], -v[22:23]
	v_add_f64_e32 v[0:1], v[172:173], v[152:153]
	v_add_f64_e32 v[2:3], v[168:169], v[50:51]
	;; [unrolled: 1-line block ×3, first 2 shown]
	v_add_f64_e64 v[62:63], v[18:19], -v[20:21]
	v_add_f64_e64 v[66:67], v[16:17], -v[4:5]
	;; [unrolled: 1-line block ×3, first 2 shown]
	v_add_f64_e32 v[58:59], v[28:29], v[26:27]
	v_add_f64_e32 v[44:45], v[6:7], v[24:25]
	v_add_f64_e64 v[46:47], v[26:27], -v[28:29]
	v_add_f64_e32 v[38:39], v[4:5], v[16:17]
	v_add_f64_e32 v[34:35], v[20:21], v[18:19]
	v_add_f64_e64 v[4:5], v[172:173], -v[152:153]
	v_add_f64_e64 v[6:7], v[168:169], -v[50:51]
	;; [unrolled: 1-line block ×4, first 2 shown]
	v_add_f64_e32 v[20:21], v[166:167], v[160:161]
	v_add_f64_e32 v[22:23], v[162:163], v[158:159]
	v_add_f64_e64 v[24:25], v[160:161], -v[166:167]
	v_add_f64_e64 v[26:27], v[158:159], -v[162:163]
	s_clause 0x1
	scratch_load_b64 v[160:161], off, off offset:2872 th:TH_LOAD_LU
	scratch_load_b64 v[162:163], off, off offset:2880 th:TH_LOAD_LU
	v_add_f64_e32 v[28:29], v[12:13], v[0:1]
	v_add_f64_e64 v[40:41], v[12:13], -v[0:1]
	v_add_f64_e32 v[30:31], v[14:15], v[2:3]
	v_add_f64_e64 v[42:43], v[14:15], -v[2:3]
	v_add_f64_e64 v[48:49], v[0:1], -v[20:21]
	;; [unrolled: 1-line block ×5, first 2 shown]
	v_add_f64_e32 v[0:1], v[24:25], v[16:17]
	v_add_f64_e32 v[2:3], v[26:27], v[18:19]
	v_add_f64_e64 v[52:53], v[24:25], -v[16:17]
	v_add_f64_e64 v[54:55], v[26:27], -v[18:19]
	;; [unrolled: 1-line block ×6, first 2 shown]
	v_add_f64_e32 v[20:21], v[20:21], v[28:29]
	v_add_f64_e32 v[22:23], v[22:23], v[30:31]
	v_mul_f64_e32 v[28:29], s[30:31], v[48:49]
	v_mul_f64_e32 v[30:31], s[30:31], v[50:51]
	;; [unrolled: 1-line block ×4, first 2 shown]
	v_add_f64_e32 v[4:5], v[0:1], v[4:5]
	v_add_f64_e32 v[6:7], v[2:3], v[6:7]
	v_mul_f64_e32 v[52:53], s[26:27], v[52:53]
	v_mul_f64_e32 v[54:55], s[26:27], v[54:55]
	;; [unrolled: 1-line block ×4, first 2 shown]
	v_add_f64_e32 v[0:1], v[250:251], v[20:21]
	v_add_f64_e32 v[2:3], v[252:253], v[22:23]
	v_fma_f64 v[12:13], v[12:13], s[14:15], v[28:29]
	v_fma_f64 v[14:15], v[14:15], s[14:15], v[30:31]
	v_fma_f64 v[48:49], v[40:41], s[18:19], -v[48:49]
	v_fma_f64 v[50:51], v[42:43], s[18:19], -v[50:51]
	;; [unrolled: 1-line block ×4, first 2 shown]
	v_fma_f64 v[40:41], v[24:25], s[16:17], v[52:53]
	v_fma_f64 v[42:43], v[26:27], s[16:17], v[54:55]
	v_fma_f64 v[16:17], v[16:17], s[28:29], -v[52:53]
	v_fma_f64 v[18:19], v[18:19], s[28:29], -v[54:55]
	v_fma_f64 v[24:25], v[24:25], s[22:23], v[68:69]
	v_fma_f64 v[26:27], v[26:27], s[22:23], v[70:71]
	;; [unrolled: 1-line block ×10, first 2 shown]
	v_add_f64_e32 v[28:29], v[28:29], v[20:21]
	v_add_f64_e32 v[12:13], v[12:13], v[20:21]
	;; [unrolled: 1-line block ×9, first 2 shown]
	v_add_f64_e64 v[54:55], v[30:31], -v[4:5]
	v_add_f64_e64 v[18:19], v[50:51], -v[68:69]
	;; [unrolled: 1-line block ×3, first 2 shown]
	v_add_f64_e32 v[70:71], v[4:5], v[30:31]
	v_add_f64_e32 v[4:5], v[226:227], v[246:247]
	;; [unrolled: 1-line block ×5, first 2 shown]
	v_add_f64_e64 v[26:27], v[14:15], -v[40:41]
	v_add_f64_e64 v[20:21], v[48:49], -v[16:17]
	v_add_f64_e32 v[16:17], v[16:17], v[48:49]
	v_add_f64_e64 v[72:73], v[12:13], -v[42:43]
	v_add_f64_e32 v[74:75], v[40:41], v[14:15]
	v_add_f64_e64 v[12:13], v[226:227], -v[246:247]
	v_add_f64_e64 v[14:15], v[232:233], -v[248:249]
	;; [unrolled: 1-line block ×4, first 2 shown]
	v_add_f64_e32 v[48:49], v[140:141], v[234:235]
	v_add_f64_e32 v[50:51], v[136:137], v[240:241]
	;; [unrolled: 1-line block ×4, first 2 shown]
	v_add_f64_e64 v[84:85], v[28:29], -v[4:5]
	v_add_f64_e64 v[86:87], v[30:31], -v[6:7]
	v_add_f64_e32 v[88:89], v[76:77], v[40:41]
	v_add_f64_e32 v[90:91], v[78:79], v[42:43]
	v_add_f64_e64 v[4:5], v[4:5], -v[48:49]
	v_add_f64_e64 v[6:7], v[6:7], -v[50:51]
	;; [unrolled: 1-line block ×10, first 2 shown]
	v_add_f64_e32 v[80:81], v[48:49], v[80:81]
	v_add_f64_e32 v[82:83], v[50:51], v[82:83]
	;; [unrolled: 1-line block ×4, first 2 shown]
	v_mul_f64_e32 v[4:5], s[30:31], v[4:5]
	v_mul_f64_e32 v[6:7], s[30:31], v[6:7]
	;; [unrolled: 1-line block ×8, first 2 shown]
	s_wait_loadcnt 0x1
	v_add_f64_e32 v[156:157], v[160:161], v[186:187]
	s_wait_loadcnt 0x0
	v_add_f64_e32 v[158:159], v[162:163], v[184:185]
	v_add_f64_e64 v[160:161], v[186:187], -v[160:161]
	v_add_f64_e64 v[162:163], v[184:185], -v[162:163]
	v_add_f64_e32 v[48:49], v[204:205], v[80:81]
	v_add_f64_e32 v[50:51], v[206:207], v[82:83]
	v_fma_f64 v[28:29], v[28:29], s[14:15], v[4:5]
	v_fma_f64 v[30:31], v[30:31], s[14:15], v[6:7]
	v_fma_f64 v[88:89], v[84:85], s[18:19], -v[88:89]
	v_fma_f64 v[90:91], v[86:87], s[18:19], -v[90:91]
	;; [unrolled: 1-line block ×4, first 2 shown]
	v_fma_f64 v[84:85], v[76:77], s[16:17], v[92:93]
	v_fma_f64 v[86:87], v[78:79], s[16:17], v[94:95]
	v_fma_f64 v[40:41], v[40:41], s[28:29], -v[92:93]
	v_fma_f64 v[42:43], v[42:43], s[28:29], -v[94:95]
	v_fma_f64 v[76:77], v[76:77], s[22:23], v[96:97]
	v_fma_f64 v[78:79], v[78:79], s[22:23], v[98:99]
	;; [unrolled: 1-line block ×10, first 2 shown]
	v_add_f64_e32 v[28:29], v[28:29], v[80:81]
	v_add_f64_e32 v[30:31], v[30:31], v[82:83]
	;; [unrolled: 1-line block ×7, first 2 shown]
	v_add_f64_e64 v[82:83], v[30:31], -v[98:99]
	v_add_f64_e32 v[76:77], v[14:15], v[4:5]
	v_add_f64_e64 v[78:79], v[6:7], -v[12:13]
	v_add_f64_e64 v[92:93], v[4:5], -v[14:15]
	v_add_f64_e32 v[94:95], v[12:13], v[6:7]
	v_add_f64_e64 v[96:97], v[28:29], -v[96:97]
	v_add_f64_e32 v[98:99], v[98:99], v[30:31]
	v_add_f64_e32 v[4:5], v[124:125], v[106:107]
	;; [unrolled: 1-line block ×5, first 2 shown]
	v_add_f64_e64 v[84:85], v[88:89], -v[42:43]
	v_add_f64_e32 v[86:87], v[40:41], v[90:91]
	v_add_f64_e32 v[88:89], v[42:43], v[88:89]
	v_add_f64_e64 v[90:91], v[90:91], -v[40:41]
	v_add_f64_e64 v[12:13], v[124:125], -v[106:107]
	;; [unrolled: 1-line block ×5, first 2 shown]
	v_add_f64_e32 v[100:101], v[116:117], v[114:115]
	v_add_f64_e64 v[104:105], v[114:115], -v[116:117]
	v_add_f64_e64 v[106:107], v[108:109], -v[112:113]
	;; [unrolled: 1-line block ×3, first 2 shown]
	v_add_f64_e32 v[108:109], v[28:29], v[4:5]
	v_add_f64_e32 v[110:111], v[30:31], v[6:7]
	v_add_f64_e64 v[112:113], v[28:29], -v[4:5]
	v_add_f64_e64 v[114:115], v[30:31], -v[6:7]
	v_add_f64_e64 v[30:31], v[102:103], -v[30:31]
	v_add_f64_e64 v[116:117], v[4:5], -v[100:101]
	v_add_f64_e64 v[28:29], v[100:101], -v[28:29]
	v_add_f64_e32 v[4:5], v[104:105], v[40:41]
	v_add_f64_e32 v[6:7], v[106:107], v[42:43]
	v_add_f64_e64 v[120:121], v[104:105], -v[40:41]
	v_add_f64_e64 v[122:123], v[106:107], -v[42:43]
	;; [unrolled: 1-line block ×6, first 2 shown]
	v_add_f64_e32 v[100:101], v[100:101], v[108:109]
	v_add_f64_e32 v[102:103], v[102:103], v[110:111]
	v_mul_f64_e32 v[110:111], s[30:31], v[118:119]
	v_mul_f64_e32 v[118:119], s[14:15], v[30:31]
	v_mul_f64_e32 v[108:109], s[30:31], v[116:117]
	v_mul_f64_e32 v[116:117], s[14:15], v[28:29]
	v_add_f64_e32 v[12:13], v[4:5], v[12:13]
	v_add_f64_e32 v[14:15], v[6:7], v[14:15]
	v_mul_f64_e32 v[120:121], s[26:27], v[120:121]
	v_mul_f64_e32 v[122:123], s[26:27], v[122:123]
	;; [unrolled: 1-line block ×4, first 2 shown]
	v_add_f64_e32 v[4:5], v[200:201], v[100:101]
	v_add_f64_e32 v[6:7], v[202:203], v[102:103]
	v_fma_f64 v[30:31], v[30:31], s[14:15], v[110:111]
	v_fma_f64 v[110:111], v[114:115], s[20:21], -v[110:111]
	v_fma_f64 v[118:119], v[114:115], s[18:19], -v[118:119]
	v_fma_f64 v[28:29], v[28:29], s[14:15], v[108:109]
	v_fma_f64 v[116:117], v[112:113], s[18:19], -v[116:117]
	v_fma_f64 v[108:109], v[112:113], s[20:21], -v[108:109]
	v_fma_f64 v[112:113], v[104:105], s[16:17], v[120:121]
	v_fma_f64 v[114:115], v[106:107], s[16:17], v[122:123]
	v_fma_f64 v[40:41], v[40:41], s[28:29], -v[120:121]
	v_fma_f64 v[42:43], v[42:43], s[28:29], -v[122:123]
	v_fma_f64 v[104:105], v[104:105], s[22:23], v[124:125]
	v_fma_f64 v[106:107], v[106:107], s[22:23], v[136:137]
	;; [unrolled: 1-line block ×10, first 2 shown]
	v_add_f64_e32 v[116:117], v[116:117], v[100:101]
	v_add_f64_e32 v[118:119], v[118:119], v[102:103]
	;; [unrolled: 1-line block ×6, first 2 shown]
	v_add_f64_e64 v[108:109], v[116:117], -v[42:43]
	v_add_f64_e32 v[110:111], v[40:41], v[118:119]
	v_add_f64_e32 v[100:101], v[14:15], v[120:121]
	v_add_f64_e64 v[102:103], v[122:123], -v[12:13]
	v_add_f64_e32 v[112:113], v[42:43], v[116:117]
	v_add_f64_e64 v[114:115], v[118:119], -v[40:41]
	v_add_f64_e64 v[116:117], v[120:121], -v[14:15]
	v_add_f64_e32 v[118:119], v[12:13], v[122:123]
	v_add_f64_e32 v[12:13], v[132:133], v[126:127]
	;; [unrolled: 1-line block ×6, first 2 shown]
	v_add_f64_e64 v[106:107], v[30:31], -v[124:125]
	v_add_f64_e64 v[120:121], v[28:29], -v[136:137]
	v_add_f64_e32 v[122:123], v[124:125], v[30:31]
	v_add_f64_e64 v[28:29], v[132:133], -v[126:127]
	v_add_f64_e64 v[30:31], v[134:135], -v[146:147]
	;; [unrolled: 1-line block ×4, first 2 shown]
	v_add_f64_e32 v[128:129], v[174:175], v[130:131]
	v_add_f64_e32 v[132:133], v[150:151], v[138:139]
	v_add_f64_e64 v[130:131], v[130:131], -v[174:175]
	v_add_f64_e64 v[134:135], v[138:139], -v[150:151]
	v_add_f64_e32 v[136:137], v[40:41], v[12:13]
	v_add_f64_e32 v[138:139], v[42:43], v[14:15]
	v_add_f64_e64 v[140:141], v[40:41], -v[12:13]
	v_add_f64_e64 v[142:143], v[42:43], -v[14:15]
	;; [unrolled: 1-line block ×6, first 2 shown]
	v_add_f64_e32 v[12:13], v[130:131], v[124:125]
	v_add_f64_e32 v[14:15], v[134:135], v[126:127]
	v_add_f64_e64 v[148:149], v[130:131], -v[124:125]
	v_add_f64_e64 v[150:151], v[134:135], -v[126:127]
	;; [unrolled: 1-line block ×6, first 2 shown]
	v_add_f64_e32 v[128:129], v[128:129], v[136:137]
	v_add_f64_e32 v[132:133], v[132:133], v[138:139]
	v_mul_f64_e32 v[136:137], s[30:31], v[144:145]
	v_mul_f64_e32 v[138:139], s[30:31], v[146:147]
	;; [unrolled: 1-line block ×4, first 2 shown]
	v_add_f64_e32 v[28:29], v[12:13], v[28:29]
	v_add_f64_e32 v[30:31], v[14:15], v[30:31]
	v_mul_f64_e32 v[148:149], s[26:27], v[148:149]
	v_mul_f64_e32 v[150:151], s[26:27], v[150:151]
	v_mul_f64_e32 v[152:153], s[10:11], v[124:125]
	v_mul_f64_e32 v[154:155], s[10:11], v[126:127]
	v_add_f64_e32 v[12:13], v[208:209], v[128:129]
	v_add_f64_e32 v[14:15], v[210:211], v[132:133]
	v_fma_f64 v[40:41], v[40:41], s[14:15], v[136:137]
	v_fma_f64 v[42:43], v[42:43], s[14:15], v[138:139]
	v_fma_f64 v[144:145], v[140:141], s[18:19], -v[144:145]
	v_fma_f64 v[146:147], v[142:143], s[18:19], -v[146:147]
	;; [unrolled: 1-line block ×4, first 2 shown]
	v_fma_f64 v[140:141], v[130:131], s[16:17], v[148:149]
	v_fma_f64 v[142:143], v[134:135], s[16:17], v[150:151]
	v_fma_f64 v[124:125], v[124:125], s[28:29], -v[148:149]
	v_fma_f64 v[126:127], v[126:127], s[28:29], -v[150:151]
	v_fma_f64 v[130:131], v[130:131], s[22:23], v[152:153]
	v_fma_f64 v[134:135], v[134:135], s[22:23], v[154:155]
	;; [unrolled: 1-line block ×6, first 2 shown]
	s_delay_alu instid0(VALU_DEP_4) | instskip(NEXT) | instid1(VALU_DEP_4)
	v_add_f64_e32 v[148:149], v[136:137], v[128:129]
	v_add_f64_e32 v[150:151], v[138:139], v[132:133]
	v_fma_f64 v[138:139], v[28:29], s[8:9], v[124:125]
	v_fma_f64 v[136:137], v[30:31], s[8:9], v[126:127]
	;; [unrolled: 1-line block ×4, first 2 shown]
	v_add_f64_e32 v[40:41], v[40:41], v[128:129]
	v_add_f64_e32 v[42:43], v[42:43], v[132:133]
	;; [unrolled: 1-line block ×4, first 2 shown]
	v_add_f64_e64 v[126:127], v[150:151], -v[28:29]
	v_add_f64_e32 v[124:125], v[30:31], v[148:149]
	v_add_f64_e64 v[140:141], v[148:149], -v[30:31]
	v_add_f64_e32 v[142:143], v[28:29], v[150:151]
	v_add_f64_e32 v[28:29], v[192:193], v[178:179]
	;; [unrolled: 1-line block ×6, first 2 shown]
	v_add_f64_e64 v[130:131], v[42:43], -v[152:153]
	v_add_f64_e64 v[132:133], v[144:145], -v[136:137]
	v_add_f64_e32 v[134:135], v[138:139], v[146:147]
	v_add_f64_e32 v[136:137], v[136:137], v[144:145]
	v_add_f64_e64 v[138:139], v[146:147], -v[138:139]
	v_add_f64_e64 v[144:145], v[40:41], -v[154:155]
	v_add_f64_e32 v[146:147], v[152:153], v[42:43]
	v_add_f64_e64 v[152:153], v[194:195], -v[182:183]
	v_add_f64_e64 v[154:155], v[190:191], -v[180:181]
	;; [unrolled: 1-line block ×6, first 2 shown]
	v_add_f64_e32 v[164:165], v[148:149], v[28:29]
	v_add_f64_e32 v[166:167], v[150:151], v[30:31]
	v_add_f64_e64 v[168:169], v[148:149], -v[28:29]
	v_add_f64_e64 v[170:171], v[150:151], -v[30:31]
	;; [unrolled: 1-line block ×4, first 2 shown]
	v_add_f64_e32 v[28:29], v[160:161], v[152:153]
	v_add_f64_e32 v[30:31], v[162:163], v[154:155]
	v_add_f64_e64 v[176:177], v[160:161], -v[152:153]
	v_add_f64_e64 v[178:179], v[162:163], -v[154:155]
	;; [unrolled: 1-line block ×6, first 2 shown]
	v_add_f64_e32 v[156:157], v[156:157], v[164:165]
	v_add_f64_e32 v[158:159], v[158:159], v[166:167]
	v_mul_f64_e32 v[164:165], s[30:31], v[172:173]
	v_mul_f64_e32 v[166:167], s[30:31], v[174:175]
	;; [unrolled: 1-line block ×4, first 2 shown]
	v_add_f64_e32 v[40:41], v[28:29], v[40:41]
	v_add_f64_e32 v[42:43], v[30:31], v[42:43]
	v_mul_f64_e32 v[176:177], s[26:27], v[176:177]
	v_mul_f64_e32 v[178:179], s[26:27], v[178:179]
	;; [unrolled: 1-line block ×4, first 2 shown]
	v_add_f64_e32 v[28:29], v[212:213], v[156:157]
	v_add_f64_e32 v[30:31], v[214:215], v[158:159]
	v_fma_f64 v[148:149], v[148:149], s[14:15], v[164:165]
	v_fma_f64 v[150:151], v[150:151], s[14:15], v[166:167]
	v_fma_f64 v[172:173], v[168:169], s[18:19], -v[172:173]
	v_fma_f64 v[174:175], v[170:171], s[18:19], -v[174:175]
	;; [unrolled: 1-line block ×4, first 2 shown]
	v_fma_f64 v[168:169], v[160:161], s[16:17], v[176:177]
	v_fma_f64 v[170:171], v[162:163], s[16:17], v[178:179]
	v_fma_f64 v[152:153], v[152:153], s[28:29], -v[176:177]
	v_fma_f64 v[154:155], v[154:155], s[28:29], -v[178:179]
	v_fma_f64 v[160:161], v[160:161], s[22:23], v[180:181]
	v_fma_f64 v[162:163], v[162:163], s[22:23], v[182:183]
	;; [unrolled: 1-line block ×10, first 2 shown]
	v_add_f64_e32 v[176:177], v[148:149], v[156:157]
	v_add_f64_e32 v[178:179], v[150:151], v[158:159]
	v_add_f64_e32 v[172:173], v[172:173], v[156:157]
	v_add_f64_e32 v[174:175], v[174:175], v[158:159]
	v_add_f64_e32 v[164:165], v[164:165], v[156:157]
	v_add_f64_e32 v[166:167], v[166:167], v[158:159]
	v_add_f64_e32 v[152:153], v[168:169], v[176:177]
	v_add_f64_e64 v[154:155], v[178:179], -v[180:181]
	v_add_f64_e64 v[156:157], v[172:173], -v[182:183]
	v_add_f64_e32 v[158:159], v[170:171], v[174:175]
	v_add_f64_e32 v[160:161], v[182:183], v[172:173]
	v_add_f64_e64 v[162:163], v[174:175], -v[170:171]
	v_add_f64_e64 v[168:169], v[176:177], -v[168:169]
	v_add_f64_e32 v[170:171], v[180:181], v[178:179]
	s_clause 0xa
	scratch_load_b64 v[172:173], off, off offset:2824 th:TH_LOAD_LU
	scratch_load_b64 v[176:177], off, off offset:2856 th:TH_LOAD_LU
	;; [unrolled: 1-line block ×11, first 2 shown]
	v_add_f64_e32 v[148:149], v[42:43], v[164:165]
	v_add_f64_e64 v[150:151], v[166:167], -v[40:41]
	v_add_f64_e64 v[164:165], v[164:165], -v[42:43]
	v_add_f64_e32 v[166:167], v[40:41], v[166:167]
	s_wait_loadcnt 0x9
	v_add_f64_e32 v[40:41], v[172:173], v[176:177]
	s_wait_loadcnt 0x7
	v_add_f64_e32 v[42:43], v[174:175], v[178:179]
	v_add_f64_e64 v[172:173], v[172:173], -v[176:177]
	v_add_f64_e64 v[174:175], v[174:175], -v[178:179]
	s_wait_loadcnt 0x5
	v_add_f64_e32 v[176:177], v[180:181], v[184:185]
	s_wait_loadcnt 0x3
	v_add_f64_e32 v[178:179], v[182:183], v[186:187]
	v_add_f64_e64 v[180:181], v[180:181], -v[184:185]
	v_add_f64_e64 v[182:183], v[182:183], -v[186:187]
	;; [unrolled: 6-line block ×3, first 2 shown]
	v_add_f64_e32 v[192:193], v[176:177], v[40:41]
	v_add_f64_e32 v[194:195], v[178:179], v[42:43]
	v_add_f64_e64 v[198:199], v[176:177], -v[40:41]
	v_add_f64_e64 v[200:201], v[178:179], -v[42:43]
	;; [unrolled: 1-line block ×4, first 2 shown]
	v_add_f64_e32 v[40:41], v[188:189], v[180:181]
	v_add_f64_e32 v[42:43], v[190:191], v[182:183]
	v_add_f64_e64 v[206:207], v[188:189], -v[180:181]
	v_add_f64_e64 v[208:209], v[190:191], -v[182:183]
	;; [unrolled: 1-line block ×8, first 2 shown]
	v_add_f64_e32 v[184:185], v[184:185], v[192:193]
	v_add_f64_e32 v[186:187], v[186:187], v[194:195]
	v_mul_f64_e32 v[192:193], s[30:31], v[202:203]
	v_mul_f64_e32 v[194:195], s[30:31], v[204:205]
	v_add_f64_e32 v[172:173], v[40:41], v[172:173]
	v_add_f64_e32 v[174:175], v[42:43], v[174:175]
	scratch_load_b128 v[40:43], off, off offset:2768 th:TH_LOAD_LU ; 16-byte Folded Reload
	v_mul_f64_e32 v[206:207], s[26:27], v[206:207]
	v_mul_f64_e32 v[208:209], s[26:27], v[208:209]
	s_mov_b32 s27, 0x3fe11646
	v_mul_f64_e32 v[210:211], s[10:11], v[180:181]
	v_mul_f64_e32 v[212:213], s[10:11], v[182:183]
	;; [unrolled: 1-line block ×4, first 2 shown]
	v_fma_f64 v[176:177], v[176:177], s[14:15], v[192:193]
	v_fma_f64 v[178:179], v[178:179], s[14:15], v[194:195]
	v_fma_f64 v[192:193], v[198:199], s[20:21], -v[192:193]
	v_fma_f64 v[194:195], v[200:201], s[20:21], -v[194:195]
	v_fma_f64 v[180:181], v[180:181], s[28:29], -v[206:207]
	v_fma_f64 v[182:183], v[182:183], s[28:29], -v[208:209]
	v_fma_f64 v[202:203], v[198:199], s[18:19], -v[202:203]
	v_fma_f64 v[204:205], v[200:201], s[18:19], -v[204:205]
	v_fma_f64 v[198:199], v[188:189], s[16:17], v[206:207]
	v_fma_f64 v[200:201], v[190:191], s[16:17], v[208:209]
	;; [unrolled: 1-line block ×4, first 2 shown]
	s_delay_alu instid0(VALU_DEP_4) | instskip(NEXT) | instid1(VALU_DEP_4)
	v_fma_f64 v[198:199], v[172:173], s[8:9], v[198:199]
	v_fma_f64 v[200:201], v[174:175], s[8:9], v[200:201]
	s_delay_alu instid0(VALU_DEP_4) | instskip(NEXT) | instid1(VALU_DEP_4)
	v_fma_f64 v[210:211], v[172:173], s[8:9], v[188:189]
	v_fma_f64 v[188:189], v[174:175], s[8:9], v[190:191]
	s_wait_loadcnt 0x0
	v_add_f64_e32 v[40:41], v[40:41], v[184:185]
	v_add_f64_e32 v[42:43], v[42:43], v[186:187]
	s_delay_alu instid0(VALU_DEP_2) | instskip(NEXT) | instid1(VALU_DEP_2)
	v_fma_f64 v[184:185], v[184:185], s[24:25], v[40:41]
	v_fma_f64 v[186:187], v[186:187], s[24:25], v[42:43]
	s_delay_alu instid0(VALU_DEP_2) | instskip(NEXT) | instid1(VALU_DEP_2)
	v_add_f64_e32 v[206:207], v[176:177], v[184:185]
	v_add_f64_e32 v[208:209], v[178:179], v[186:187]
	v_add_f64_e32 v[202:203], v[202:203], v[184:185]
	v_add_f64_e32 v[204:205], v[204:205], v[186:187]
	v_add_f64_e32 v[192:193], v[192:193], v[184:185]
	v_add_f64_e32 v[194:195], v[194:195], v[186:187]
	v_fma_f64 v[186:187], v[172:173], s[8:9], v[180:181]
	v_fma_f64 v[184:185], v[174:175], s[8:9], v[182:183]
	s_mov_b32 s9, 0xbfdc38aa
	v_add_f64_e32 v[172:173], v[200:201], v[206:207]
	v_add_f64_e64 v[174:175], v[208:209], -v[198:199]
	v_add_f64_e32 v[176:177], v[188:189], v[192:193]
	v_add_f64_e64 v[178:179], v[194:195], -v[210:211]
	;; [unrolled: 2-line block ×4, first 2 shown]
	v_add_f64_e64 v[188:189], v[192:193], -v[188:189]
	v_add_f64_e32 v[190:191], v[210:211], v[194:195]
	v_add_f64_e64 v[192:193], v[206:207], -v[200:201]
	v_add_f64_e32 v[194:195], v[198:199], v[208:209]
	ds_store_b128 v196, v[8:11]
	ds_store_b128 v196, v[60:63] offset:5488
	ds_store_b128 v196, v[64:67] offset:10976
	;; [unrolled: 1-line block ×48, first 2 shown]
	global_wb scope:SCOPE_SE
	s_wait_storecnt_dscnt 0x0
	s_barrier_signal -1
	s_barrier_wait -1
	global_inv scope:SCOPE_SE
	ds_load_b128 v[0:3], v196
	global_load_b128 v[4:7], v196, s[4:5] offset:38416
	s_mov_b32 s4, 0x5cf97efd
	s_mov_b32 s5, 0x3f3b4b98
	s_wait_loadcnt_dscnt 0x0
	v_mul_f64_e32 v[8:9], v[2:3], v[6:7]
	s_delay_alu instid0(VALU_DEP_1) | instskip(SKIP_1) | instid1(VALU_DEP_1)
	v_fma_f64 v[8:9], v[0:1], v[4:5], -v[8:9]
	v_mul_f64_e32 v[0:1], v[0:1], v[6:7]
	v_fma_f64 v[10:11], v[2:3], v[4:5], v[0:1]
	ds_load_b128 v[0:3], v196 offset:5488
	global_load_b128 v[4:7], v196, s[34:35] offset:5488
	ds_store_b128 v196, v[8:11]
	s_wait_loadcnt_dscnt 0x1
	v_mul_f64_e32 v[8:9], v[2:3], v[6:7]
	s_delay_alu instid0(VALU_DEP_1) | instskip(SKIP_1) | instid1(VALU_DEP_1)
	v_fma_f64 v[8:9], v[0:1], v[4:5], -v[8:9]
	v_mul_f64_e32 v[0:1], v[0:1], v[6:7]
	v_fma_f64 v[10:11], v[2:3], v[4:5], v[0:1]
	ds_load_b128 v[0:3], v196 offset:10976
	global_load_b128 v[4:7], v196, s[34:35] offset:10976
	ds_store_b128 v196, v[8:11] offset:5488
	s_wait_loadcnt_dscnt 0x1
	v_mul_f64_e32 v[8:9], v[2:3], v[6:7]
	s_delay_alu instid0(VALU_DEP_1) | instskip(SKIP_1) | instid1(VALU_DEP_1)
	v_fma_f64 v[8:9], v[0:1], v[4:5], -v[8:9]
	v_mul_f64_e32 v[0:1], v[0:1], v[6:7]
	v_fma_f64 v[10:11], v[2:3], v[4:5], v[0:1]
	ds_load_b128 v[0:3], v196 offset:16464
	global_load_b128 v[4:7], v196, s[34:35] offset:16464
	ds_store_b128 v196, v[8:11] offset:10976
	s_wait_loadcnt_dscnt 0x1
	v_mul_f64_e32 v[8:9], v[2:3], v[6:7]
	s_delay_alu instid0(VALU_DEP_1) | instskip(SKIP_1) | instid1(VALU_DEP_1)
	v_fma_f64 v[8:9], v[0:1], v[4:5], -v[8:9]
	v_mul_f64_e32 v[0:1], v[0:1], v[6:7]
	v_fma_f64 v[10:11], v[2:3], v[4:5], v[0:1]
	ds_load_b128 v[0:3], v196 offset:21952
	global_load_b128 v[4:7], v196, s[34:35] offset:21952
	ds_store_b128 v196, v[8:11] offset:16464
	s_wait_loadcnt_dscnt 0x1
	v_mul_f64_e32 v[8:9], v[2:3], v[6:7]
	s_delay_alu instid0(VALU_DEP_1) | instskip(SKIP_1) | instid1(VALU_DEP_1)
	v_fma_f64 v[8:9], v[0:1], v[4:5], -v[8:9]
	v_mul_f64_e32 v[0:1], v[0:1], v[6:7]
	v_fma_f64 v[10:11], v[2:3], v[4:5], v[0:1]
	ds_load_b128 v[0:3], v196 offset:27440
	global_load_b128 v[4:7], v196, s[34:35] offset:27440
	ds_store_b128 v196, v[8:11] offset:21952
	s_wait_loadcnt_dscnt 0x1
	v_mul_f64_e32 v[8:9], v[2:3], v[6:7]
	s_delay_alu instid0(VALU_DEP_1) | instskip(SKIP_1) | instid1(VALU_DEP_1)
	v_fma_f64 v[8:9], v[0:1], v[4:5], -v[8:9]
	v_mul_f64_e32 v[0:1], v[0:1], v[6:7]
	v_fma_f64 v[10:11], v[2:3], v[4:5], v[0:1]
	ds_load_b128 v[0:3], v196 offset:32928
	global_load_b128 v[4:7], v196, s[34:35] offset:32928
	ds_store_b128 v196, v[8:11] offset:27440
	s_wait_loadcnt_dscnt 0x1
	v_mul_f64_e32 v[8:9], v[2:3], v[6:7]
	s_delay_alu instid0(VALU_DEP_1) | instskip(SKIP_1) | instid1(VALU_DEP_1)
	v_fma_f64 v[8:9], v[0:1], v[4:5], -v[8:9]
	v_mul_f64_e32 v[0:1], v[0:1], v[6:7]
	v_fma_f64 v[10:11], v[2:3], v[4:5], v[0:1]
	ds_load_b128 v[0:3], v196 offset:784
	global_load_b128 v[4:7], v196, s[34:35] offset:784
	ds_store_b128 v196, v[8:11] offset:32928
	s_wait_loadcnt_dscnt 0x1
	v_mul_f64_e32 v[8:9], v[2:3], v[6:7]
	s_delay_alu instid0(VALU_DEP_1) | instskip(SKIP_1) | instid1(VALU_DEP_1)
	v_fma_f64 v[8:9], v[0:1], v[4:5], -v[8:9]
	v_mul_f64_e32 v[0:1], v[0:1], v[6:7]
	v_fma_f64 v[10:11], v[2:3], v[4:5], v[0:1]
	ds_load_b128 v[0:3], v196 offset:6272
	global_load_b128 v[4:7], v196, s[34:35] offset:6272
	ds_store_b128 v196, v[8:11] offset:784
	s_wait_loadcnt_dscnt 0x1
	v_mul_f64_e32 v[8:9], v[2:3], v[6:7]
	s_delay_alu instid0(VALU_DEP_1) | instskip(SKIP_1) | instid1(VALU_DEP_1)
	v_fma_f64 v[8:9], v[0:1], v[4:5], -v[8:9]
	v_mul_f64_e32 v[0:1], v[0:1], v[6:7]
	v_fma_f64 v[10:11], v[2:3], v[4:5], v[0:1]
	ds_load_b128 v[0:3], v196 offset:11760
	global_load_b128 v[4:7], v196, s[34:35] offset:11760
	ds_store_b128 v196, v[8:11] offset:6272
	s_wait_loadcnt_dscnt 0x1
	v_mul_f64_e32 v[8:9], v[2:3], v[6:7]
	s_delay_alu instid0(VALU_DEP_1) | instskip(SKIP_1) | instid1(VALU_DEP_1)
	v_fma_f64 v[8:9], v[0:1], v[4:5], -v[8:9]
	v_mul_f64_e32 v[0:1], v[0:1], v[6:7]
	v_fma_f64 v[10:11], v[2:3], v[4:5], v[0:1]
	ds_load_b128 v[0:3], v196 offset:17248
	global_load_b128 v[4:7], v196, s[34:35] offset:17248
	ds_store_b128 v196, v[8:11] offset:11760
	s_wait_loadcnt_dscnt 0x1
	v_mul_f64_e32 v[8:9], v[2:3], v[6:7]
	s_delay_alu instid0(VALU_DEP_1) | instskip(SKIP_1) | instid1(VALU_DEP_1)
	v_fma_f64 v[8:9], v[0:1], v[4:5], -v[8:9]
	v_mul_f64_e32 v[0:1], v[0:1], v[6:7]
	v_fma_f64 v[10:11], v[2:3], v[4:5], v[0:1]
	ds_load_b128 v[0:3], v196 offset:22736
	global_load_b128 v[4:7], v196, s[34:35] offset:22736
	ds_store_b128 v196, v[8:11] offset:17248
	s_wait_loadcnt_dscnt 0x1
	v_mul_f64_e32 v[8:9], v[2:3], v[6:7]
	s_delay_alu instid0(VALU_DEP_1) | instskip(SKIP_1) | instid1(VALU_DEP_1)
	v_fma_f64 v[8:9], v[0:1], v[4:5], -v[8:9]
	v_mul_f64_e32 v[0:1], v[0:1], v[6:7]
	v_fma_f64 v[10:11], v[2:3], v[4:5], v[0:1]
	ds_load_b128 v[0:3], v196 offset:28224
	global_load_b128 v[4:7], v196, s[34:35] offset:28224
	ds_store_b128 v196, v[8:11] offset:22736
	s_wait_loadcnt_dscnt 0x1
	v_mul_f64_e32 v[8:9], v[2:3], v[6:7]
	s_delay_alu instid0(VALU_DEP_1) | instskip(SKIP_1) | instid1(VALU_DEP_1)
	v_fma_f64 v[8:9], v[0:1], v[4:5], -v[8:9]
	v_mul_f64_e32 v[0:1], v[0:1], v[6:7]
	v_fma_f64 v[10:11], v[2:3], v[4:5], v[0:1]
	ds_load_b128 v[0:3], v196 offset:33712
	global_load_b128 v[4:7], v196, s[34:35] offset:33712
	ds_store_b128 v196, v[8:11] offset:28224
	s_wait_loadcnt_dscnt 0x1
	v_mul_f64_e32 v[8:9], v[2:3], v[6:7]
	s_delay_alu instid0(VALU_DEP_1) | instskip(SKIP_1) | instid1(VALU_DEP_1)
	v_fma_f64 v[8:9], v[0:1], v[4:5], -v[8:9]
	v_mul_f64_e32 v[0:1], v[0:1], v[6:7]
	v_fma_f64 v[10:11], v[2:3], v[4:5], v[0:1]
	ds_load_b128 v[0:3], v196 offset:1568
	global_load_b128 v[4:7], v196, s[34:35] offset:1568
	ds_store_b128 v196, v[8:11] offset:33712
	s_wait_loadcnt_dscnt 0x1
	v_mul_f64_e32 v[8:9], v[2:3], v[6:7]
	s_delay_alu instid0(VALU_DEP_1) | instskip(SKIP_1) | instid1(VALU_DEP_1)
	v_fma_f64 v[8:9], v[0:1], v[4:5], -v[8:9]
	v_mul_f64_e32 v[0:1], v[0:1], v[6:7]
	v_fma_f64 v[10:11], v[2:3], v[4:5], v[0:1]
	ds_load_b128 v[0:3], v196 offset:7056
	global_load_b128 v[4:7], v196, s[34:35] offset:7056
	ds_store_b128 v196, v[8:11] offset:1568
	s_wait_loadcnt_dscnt 0x1
	v_mul_f64_e32 v[8:9], v[2:3], v[6:7]
	s_delay_alu instid0(VALU_DEP_1) | instskip(SKIP_1) | instid1(VALU_DEP_1)
	v_fma_f64 v[8:9], v[0:1], v[4:5], -v[8:9]
	v_mul_f64_e32 v[0:1], v[0:1], v[6:7]
	v_fma_f64 v[10:11], v[2:3], v[4:5], v[0:1]
	ds_load_b128 v[0:3], v196 offset:12544
	global_load_b128 v[4:7], v196, s[34:35] offset:12544
	ds_store_b128 v196, v[8:11] offset:7056
	s_wait_loadcnt_dscnt 0x1
	v_mul_f64_e32 v[8:9], v[2:3], v[6:7]
	s_delay_alu instid0(VALU_DEP_1) | instskip(SKIP_1) | instid1(VALU_DEP_1)
	v_fma_f64 v[8:9], v[0:1], v[4:5], -v[8:9]
	v_mul_f64_e32 v[0:1], v[0:1], v[6:7]
	v_fma_f64 v[10:11], v[2:3], v[4:5], v[0:1]
	ds_load_b128 v[0:3], v196 offset:18032
	global_load_b128 v[4:7], v196, s[34:35] offset:18032
	ds_store_b128 v196, v[8:11] offset:12544
	s_wait_loadcnt_dscnt 0x1
	v_mul_f64_e32 v[8:9], v[2:3], v[6:7]
	s_delay_alu instid0(VALU_DEP_1) | instskip(SKIP_1) | instid1(VALU_DEP_1)
	v_fma_f64 v[8:9], v[0:1], v[4:5], -v[8:9]
	v_mul_f64_e32 v[0:1], v[0:1], v[6:7]
	v_fma_f64 v[10:11], v[2:3], v[4:5], v[0:1]
	ds_load_b128 v[0:3], v196 offset:23520
	global_load_b128 v[4:7], v196, s[34:35] offset:23520
	ds_store_b128 v196, v[8:11] offset:18032
	s_wait_loadcnt_dscnt 0x1
	v_mul_f64_e32 v[8:9], v[2:3], v[6:7]
	s_delay_alu instid0(VALU_DEP_1) | instskip(SKIP_1) | instid1(VALU_DEP_1)
	v_fma_f64 v[8:9], v[0:1], v[4:5], -v[8:9]
	v_mul_f64_e32 v[0:1], v[0:1], v[6:7]
	v_fma_f64 v[10:11], v[2:3], v[4:5], v[0:1]
	ds_load_b128 v[0:3], v196 offset:29008
	global_load_b128 v[4:7], v196, s[34:35] offset:29008
	ds_store_b128 v196, v[8:11] offset:23520
	s_wait_loadcnt_dscnt 0x1
	v_mul_f64_e32 v[8:9], v[2:3], v[6:7]
	s_delay_alu instid0(VALU_DEP_1) | instskip(SKIP_1) | instid1(VALU_DEP_1)
	v_fma_f64 v[8:9], v[0:1], v[4:5], -v[8:9]
	v_mul_f64_e32 v[0:1], v[0:1], v[6:7]
	v_fma_f64 v[10:11], v[2:3], v[4:5], v[0:1]
	ds_load_b128 v[0:3], v196 offset:34496
	global_load_b128 v[4:7], v196, s[34:35] offset:34496
	ds_store_b128 v196, v[8:11] offset:29008
	s_wait_loadcnt_dscnt 0x1
	v_mul_f64_e32 v[8:9], v[2:3], v[6:7]
	s_delay_alu instid0(VALU_DEP_1) | instskip(SKIP_1) | instid1(VALU_DEP_1)
	v_fma_f64 v[8:9], v[0:1], v[4:5], -v[8:9]
	v_mul_f64_e32 v[0:1], v[0:1], v[6:7]
	v_fma_f64 v[10:11], v[2:3], v[4:5], v[0:1]
	ds_load_b128 v[0:3], v196 offset:2352
	global_load_b128 v[4:7], v196, s[34:35] offset:2352
	ds_store_b128 v196, v[8:11] offset:34496
	s_wait_loadcnt_dscnt 0x1
	v_mul_f64_e32 v[8:9], v[2:3], v[6:7]
	s_delay_alu instid0(VALU_DEP_1) | instskip(SKIP_1) | instid1(VALU_DEP_1)
	v_fma_f64 v[8:9], v[0:1], v[4:5], -v[8:9]
	v_mul_f64_e32 v[0:1], v[0:1], v[6:7]
	v_fma_f64 v[10:11], v[2:3], v[4:5], v[0:1]
	ds_load_b128 v[0:3], v196 offset:7840
	global_load_b128 v[4:7], v196, s[34:35] offset:7840
	ds_store_b128 v196, v[8:11] offset:2352
	s_wait_loadcnt_dscnt 0x1
	v_mul_f64_e32 v[8:9], v[2:3], v[6:7]
	s_delay_alu instid0(VALU_DEP_1) | instskip(SKIP_1) | instid1(VALU_DEP_1)
	v_fma_f64 v[8:9], v[0:1], v[4:5], -v[8:9]
	v_mul_f64_e32 v[0:1], v[0:1], v[6:7]
	v_fma_f64 v[10:11], v[2:3], v[4:5], v[0:1]
	ds_load_b128 v[0:3], v196 offset:13328
	global_load_b128 v[4:7], v196, s[34:35] offset:13328
	ds_store_b128 v196, v[8:11] offset:7840
	s_wait_loadcnt_dscnt 0x1
	v_mul_f64_e32 v[8:9], v[2:3], v[6:7]
	s_delay_alu instid0(VALU_DEP_1) | instskip(SKIP_1) | instid1(VALU_DEP_1)
	v_fma_f64 v[8:9], v[0:1], v[4:5], -v[8:9]
	v_mul_f64_e32 v[0:1], v[0:1], v[6:7]
	v_fma_f64 v[10:11], v[2:3], v[4:5], v[0:1]
	ds_load_b128 v[0:3], v196 offset:18816
	global_load_b128 v[4:7], v196, s[34:35] offset:18816
	ds_store_b128 v196, v[8:11] offset:13328
	s_wait_loadcnt_dscnt 0x1
	v_mul_f64_e32 v[8:9], v[2:3], v[6:7]
	s_delay_alu instid0(VALU_DEP_1) | instskip(SKIP_1) | instid1(VALU_DEP_1)
	v_fma_f64 v[8:9], v[0:1], v[4:5], -v[8:9]
	v_mul_f64_e32 v[0:1], v[0:1], v[6:7]
	v_fma_f64 v[10:11], v[2:3], v[4:5], v[0:1]
	ds_load_b128 v[0:3], v196 offset:24304
	global_load_b128 v[4:7], v196, s[34:35] offset:24304
	ds_store_b128 v196, v[8:11] offset:18816
	s_wait_loadcnt_dscnt 0x1
	v_mul_f64_e32 v[8:9], v[2:3], v[6:7]
	s_delay_alu instid0(VALU_DEP_1) | instskip(SKIP_1) | instid1(VALU_DEP_1)
	v_fma_f64 v[8:9], v[0:1], v[4:5], -v[8:9]
	v_mul_f64_e32 v[0:1], v[0:1], v[6:7]
	v_fma_f64 v[10:11], v[2:3], v[4:5], v[0:1]
	ds_load_b128 v[0:3], v196 offset:29792
	global_load_b128 v[4:7], v196, s[34:35] offset:29792
	ds_store_b128 v196, v[8:11] offset:24304
	s_wait_loadcnt_dscnt 0x1
	v_mul_f64_e32 v[8:9], v[2:3], v[6:7]
	s_delay_alu instid0(VALU_DEP_1) | instskip(SKIP_1) | instid1(VALU_DEP_1)
	v_fma_f64 v[8:9], v[0:1], v[4:5], -v[8:9]
	v_mul_f64_e32 v[0:1], v[0:1], v[6:7]
	v_fma_f64 v[10:11], v[2:3], v[4:5], v[0:1]
	ds_load_b128 v[0:3], v196 offset:35280
	global_load_b128 v[4:7], v196, s[34:35] offset:35280
	ds_store_b128 v196, v[8:11] offset:29792
	s_wait_loadcnt_dscnt 0x1
	v_mul_f64_e32 v[8:9], v[2:3], v[6:7]
	s_delay_alu instid0(VALU_DEP_1) | instskip(SKIP_1) | instid1(VALU_DEP_1)
	v_fma_f64 v[8:9], v[0:1], v[4:5], -v[8:9]
	v_mul_f64_e32 v[0:1], v[0:1], v[6:7]
	v_fma_f64 v[10:11], v[2:3], v[4:5], v[0:1]
	ds_load_b128 v[0:3], v196 offset:3136
	global_load_b128 v[4:7], v196, s[34:35] offset:3136
	ds_store_b128 v196, v[8:11] offset:35280
	s_wait_loadcnt_dscnt 0x1
	v_mul_f64_e32 v[8:9], v[2:3], v[6:7]
	s_delay_alu instid0(VALU_DEP_1) | instskip(SKIP_1) | instid1(VALU_DEP_1)
	v_fma_f64 v[8:9], v[0:1], v[4:5], -v[8:9]
	v_mul_f64_e32 v[0:1], v[0:1], v[6:7]
	v_fma_f64 v[10:11], v[2:3], v[4:5], v[0:1]
	ds_load_b128 v[0:3], v196 offset:8624
	global_load_b128 v[4:7], v196, s[34:35] offset:8624
	ds_store_b128 v196, v[8:11] offset:3136
	s_wait_loadcnt_dscnt 0x1
	v_mul_f64_e32 v[8:9], v[2:3], v[6:7]
	s_delay_alu instid0(VALU_DEP_1) | instskip(SKIP_1) | instid1(VALU_DEP_1)
	v_fma_f64 v[8:9], v[0:1], v[4:5], -v[8:9]
	v_mul_f64_e32 v[0:1], v[0:1], v[6:7]
	v_fma_f64 v[10:11], v[2:3], v[4:5], v[0:1]
	ds_load_b128 v[0:3], v196 offset:14112
	global_load_b128 v[4:7], v196, s[34:35] offset:14112
	ds_store_b128 v196, v[8:11] offset:8624
	s_wait_loadcnt_dscnt 0x1
	v_mul_f64_e32 v[8:9], v[2:3], v[6:7]
	s_delay_alu instid0(VALU_DEP_1) | instskip(SKIP_1) | instid1(VALU_DEP_1)
	v_fma_f64 v[8:9], v[0:1], v[4:5], -v[8:9]
	v_mul_f64_e32 v[0:1], v[0:1], v[6:7]
	v_fma_f64 v[10:11], v[2:3], v[4:5], v[0:1]
	ds_load_b128 v[0:3], v196 offset:19600
	global_load_b128 v[4:7], v196, s[34:35] offset:19600
	ds_store_b128 v196, v[8:11] offset:14112
	s_wait_loadcnt_dscnt 0x1
	v_mul_f64_e32 v[8:9], v[2:3], v[6:7]
	s_delay_alu instid0(VALU_DEP_1) | instskip(SKIP_1) | instid1(VALU_DEP_1)
	v_fma_f64 v[8:9], v[0:1], v[4:5], -v[8:9]
	v_mul_f64_e32 v[0:1], v[0:1], v[6:7]
	v_fma_f64 v[10:11], v[2:3], v[4:5], v[0:1]
	ds_load_b128 v[0:3], v196 offset:25088
	global_load_b128 v[4:7], v196, s[34:35] offset:25088
	ds_store_b128 v196, v[8:11] offset:19600
	s_wait_loadcnt_dscnt 0x1
	v_mul_f64_e32 v[8:9], v[2:3], v[6:7]
	s_delay_alu instid0(VALU_DEP_1) | instskip(SKIP_1) | instid1(VALU_DEP_1)
	v_fma_f64 v[8:9], v[0:1], v[4:5], -v[8:9]
	v_mul_f64_e32 v[0:1], v[0:1], v[6:7]
	v_fma_f64 v[10:11], v[2:3], v[4:5], v[0:1]
	ds_load_b128 v[0:3], v196 offset:30576
	global_load_b128 v[4:7], v196, s[34:35] offset:30576
	ds_store_b128 v196, v[8:11] offset:25088
	s_wait_loadcnt_dscnt 0x1
	v_mul_f64_e32 v[8:9], v[2:3], v[6:7]
	s_delay_alu instid0(VALU_DEP_1) | instskip(SKIP_1) | instid1(VALU_DEP_1)
	v_fma_f64 v[8:9], v[0:1], v[4:5], -v[8:9]
	v_mul_f64_e32 v[0:1], v[0:1], v[6:7]
	v_fma_f64 v[10:11], v[2:3], v[4:5], v[0:1]
	ds_load_b128 v[0:3], v196 offset:36064
	global_load_b128 v[4:7], v196, s[34:35] offset:36064
	ds_store_b128 v196, v[8:11] offset:30576
	s_wait_loadcnt_dscnt 0x1
	v_mul_f64_e32 v[8:9], v[2:3], v[6:7]
	s_delay_alu instid0(VALU_DEP_1) | instskip(SKIP_1) | instid1(VALU_DEP_1)
	v_fma_f64 v[8:9], v[0:1], v[4:5], -v[8:9]
	v_mul_f64_e32 v[0:1], v[0:1], v[6:7]
	v_fma_f64 v[10:11], v[2:3], v[4:5], v[0:1]
	ds_load_b128 v[0:3], v196 offset:3920
	global_load_b128 v[4:7], v196, s[34:35] offset:3920
	ds_store_b128 v196, v[8:11] offset:36064
	s_wait_loadcnt_dscnt 0x1
	v_mul_f64_e32 v[8:9], v[2:3], v[6:7]
	s_delay_alu instid0(VALU_DEP_1) | instskip(SKIP_1) | instid1(VALU_DEP_1)
	v_fma_f64 v[8:9], v[0:1], v[4:5], -v[8:9]
	v_mul_f64_e32 v[0:1], v[0:1], v[6:7]
	v_fma_f64 v[10:11], v[2:3], v[4:5], v[0:1]
	ds_load_b128 v[0:3], v196 offset:9408
	global_load_b128 v[4:7], v196, s[34:35] offset:9408
	ds_store_b128 v196, v[8:11] offset:3920
	s_wait_loadcnt_dscnt 0x1
	v_mul_f64_e32 v[8:9], v[2:3], v[6:7]
	s_delay_alu instid0(VALU_DEP_1) | instskip(SKIP_1) | instid1(VALU_DEP_1)
	v_fma_f64 v[8:9], v[0:1], v[4:5], -v[8:9]
	v_mul_f64_e32 v[0:1], v[0:1], v[6:7]
	v_fma_f64 v[10:11], v[2:3], v[4:5], v[0:1]
	ds_load_b128 v[0:3], v196 offset:14896
	global_load_b128 v[4:7], v196, s[34:35] offset:14896
	ds_store_b128 v196, v[8:11] offset:9408
	s_wait_loadcnt_dscnt 0x1
	v_mul_f64_e32 v[8:9], v[2:3], v[6:7]
	s_delay_alu instid0(VALU_DEP_1) | instskip(SKIP_1) | instid1(VALU_DEP_1)
	v_fma_f64 v[8:9], v[0:1], v[4:5], -v[8:9]
	v_mul_f64_e32 v[0:1], v[0:1], v[6:7]
	v_fma_f64 v[10:11], v[2:3], v[4:5], v[0:1]
	ds_load_b128 v[0:3], v196 offset:20384
	global_load_b128 v[4:7], v196, s[34:35] offset:20384
	ds_store_b128 v196, v[8:11] offset:14896
	s_wait_loadcnt_dscnt 0x1
	v_mul_f64_e32 v[8:9], v[2:3], v[6:7]
	s_delay_alu instid0(VALU_DEP_1) | instskip(SKIP_1) | instid1(VALU_DEP_1)
	v_fma_f64 v[8:9], v[0:1], v[4:5], -v[8:9]
	v_mul_f64_e32 v[0:1], v[0:1], v[6:7]
	v_fma_f64 v[10:11], v[2:3], v[4:5], v[0:1]
	ds_load_b128 v[0:3], v196 offset:25872
	global_load_b128 v[4:7], v196, s[34:35] offset:25872
	ds_store_b128 v196, v[8:11] offset:20384
	s_wait_loadcnt_dscnt 0x1
	v_mul_f64_e32 v[8:9], v[2:3], v[6:7]
	s_delay_alu instid0(VALU_DEP_1) | instskip(SKIP_1) | instid1(VALU_DEP_1)
	v_fma_f64 v[8:9], v[0:1], v[4:5], -v[8:9]
	v_mul_f64_e32 v[0:1], v[0:1], v[6:7]
	v_fma_f64 v[10:11], v[2:3], v[4:5], v[0:1]
	ds_load_b128 v[0:3], v196 offset:31360
	global_load_b128 v[4:7], v196, s[34:35] offset:31360
	ds_store_b128 v196, v[8:11] offset:25872
	s_wait_loadcnt_dscnt 0x1
	v_mul_f64_e32 v[8:9], v[2:3], v[6:7]
	s_delay_alu instid0(VALU_DEP_1) | instskip(SKIP_1) | instid1(VALU_DEP_1)
	v_fma_f64 v[8:9], v[0:1], v[4:5], -v[8:9]
	v_mul_f64_e32 v[0:1], v[0:1], v[6:7]
	v_fma_f64 v[10:11], v[2:3], v[4:5], v[0:1]
	ds_load_b128 v[0:3], v196 offset:36848
	global_load_b128 v[4:7], v196, s[34:35] offset:36848
	ds_store_b128 v196, v[8:11] offset:31360
	s_wait_loadcnt_dscnt 0x1
	v_mul_f64_e32 v[8:9], v[2:3], v[6:7]
	s_delay_alu instid0(VALU_DEP_1) | instskip(SKIP_1) | instid1(VALU_DEP_1)
	v_fma_f64 v[8:9], v[0:1], v[4:5], -v[8:9]
	v_mul_f64_e32 v[0:1], v[0:1], v[6:7]
	v_fma_f64 v[10:11], v[2:3], v[4:5], v[0:1]
	ds_load_b128 v[0:3], v196 offset:4704
	global_load_b128 v[4:7], v196, s[34:35] offset:4704
	ds_store_b128 v196, v[8:11] offset:36848
	s_wait_loadcnt_dscnt 0x1
	v_mul_f64_e32 v[8:9], v[2:3], v[6:7]
	s_delay_alu instid0(VALU_DEP_1) | instskip(SKIP_1) | instid1(VALU_DEP_1)
	v_fma_f64 v[8:9], v[0:1], v[4:5], -v[8:9]
	v_mul_f64_e32 v[0:1], v[0:1], v[6:7]
	v_fma_f64 v[10:11], v[2:3], v[4:5], v[0:1]
	ds_load_b128 v[0:3], v196 offset:10192
	global_load_b128 v[4:7], v196, s[34:35] offset:10192
	ds_store_b128 v196, v[8:11] offset:4704
	s_wait_loadcnt_dscnt 0x1
	v_mul_f64_e32 v[8:9], v[2:3], v[6:7]
	s_delay_alu instid0(VALU_DEP_1) | instskip(SKIP_1) | instid1(VALU_DEP_1)
	v_fma_f64 v[8:9], v[0:1], v[4:5], -v[8:9]
	v_mul_f64_e32 v[0:1], v[0:1], v[6:7]
	v_fma_f64 v[10:11], v[2:3], v[4:5], v[0:1]
	ds_load_b128 v[0:3], v196 offset:15680
	global_load_b128 v[4:7], v196, s[34:35] offset:15680
	ds_store_b128 v196, v[8:11] offset:10192
	s_wait_loadcnt_dscnt 0x1
	v_mul_f64_e32 v[8:9], v[2:3], v[6:7]
	s_delay_alu instid0(VALU_DEP_1) | instskip(SKIP_1) | instid1(VALU_DEP_1)
	v_fma_f64 v[8:9], v[0:1], v[4:5], -v[8:9]
	v_mul_f64_e32 v[0:1], v[0:1], v[6:7]
	v_fma_f64 v[10:11], v[2:3], v[4:5], v[0:1]
	ds_load_b128 v[0:3], v196 offset:21168
	global_load_b128 v[4:7], v196, s[34:35] offset:21168
	ds_store_b128 v196, v[8:11] offset:15680
	s_wait_loadcnt_dscnt 0x1
	v_mul_f64_e32 v[8:9], v[2:3], v[6:7]
	s_delay_alu instid0(VALU_DEP_1) | instskip(SKIP_1) | instid1(VALU_DEP_1)
	v_fma_f64 v[8:9], v[0:1], v[4:5], -v[8:9]
	v_mul_f64_e32 v[0:1], v[0:1], v[6:7]
	v_fma_f64 v[10:11], v[2:3], v[4:5], v[0:1]
	ds_load_b128 v[0:3], v196 offset:26656
	global_load_b128 v[4:7], v196, s[34:35] offset:26656
	ds_store_b128 v196, v[8:11] offset:21168
	s_wait_loadcnt_dscnt 0x1
	v_mul_f64_e32 v[8:9], v[2:3], v[6:7]
	s_delay_alu instid0(VALU_DEP_1) | instskip(SKIP_1) | instid1(VALU_DEP_1)
	v_fma_f64 v[8:9], v[0:1], v[4:5], -v[8:9]
	v_mul_f64_e32 v[0:1], v[0:1], v[6:7]
	v_fma_f64 v[10:11], v[2:3], v[4:5], v[0:1]
	ds_load_b128 v[0:3], v196 offset:32144
	global_load_b128 v[4:7], v196, s[34:35] offset:32144
	ds_store_b128 v196, v[8:11] offset:26656
	s_wait_loadcnt_dscnt 0x1
	v_mul_f64_e32 v[8:9], v[2:3], v[6:7]
	s_delay_alu instid0(VALU_DEP_1) | instskip(SKIP_1) | instid1(VALU_DEP_1)
	v_fma_f64 v[8:9], v[0:1], v[4:5], -v[8:9]
	v_mul_f64_e32 v[0:1], v[0:1], v[6:7]
	v_fma_f64 v[10:11], v[2:3], v[4:5], v[0:1]
	ds_load_b128 v[0:3], v196 offset:37632
	global_load_b128 v[4:7], v196, s[34:35] offset:37632
	ds_store_b128 v196, v[8:11] offset:32144
	s_wait_loadcnt_dscnt 0x1
	v_mul_f64_e32 v[8:9], v[2:3], v[6:7]
	s_delay_alu instid0(VALU_DEP_1) | instskip(SKIP_1) | instid1(VALU_DEP_1)
	v_fma_f64 v[8:9], v[0:1], v[4:5], -v[8:9]
	v_mul_f64_e32 v[0:1], v[0:1], v[6:7]
	v_fma_f64 v[10:11], v[2:3], v[4:5], v[0:1]
	ds_store_b128 v196, v[8:11] offset:37632
	global_wb scope:SCOPE_SE
	s_wait_dscnt 0x0
	s_barrier_signal -1
	s_barrier_wait -1
	global_inv scope:SCOPE_SE
	ds_load_b128 v[68:71], v196
	ds_load_b128 v[188:191], v196 offset:5488
	ds_load_b128 v[180:183], v196 offset:10976
	;; [unrolled: 1-line block ×48, first 2 shown]
	s_wait_dscnt 0x2a
	v_add_f64_e32 v[198:199], v[188:189], v[192:193]
	v_add_f64_e64 v[188:189], v[188:189], -v[192:193]
	v_add_f64_e32 v[192:193], v[180:181], v[184:185]
	v_add_f64_e32 v[200:201], v[190:191], v[194:195]
	v_add_f64_e64 v[190:191], v[190:191], -v[194:195]
	v_add_f64_e32 v[194:195], v[182:183], v[186:187]
	v_add_f64_e64 v[180:181], v[180:181], -v[184:185]
	v_add_f64_e64 v[182:183], v[182:183], -v[186:187]
	v_add_f64_e32 v[184:185], v[172:173], v[176:177]
	v_add_f64_e32 v[186:187], v[174:175], v[178:179]
	v_add_f64_e64 v[172:173], v[176:177], -v[172:173]
	v_add_f64_e64 v[174:175], v[178:179], -v[174:175]
	global_wb scope:SCOPE_SE
	s_wait_dscnt 0x0
	s_barrier_signal -1
	s_barrier_wait -1
	global_inv scope:SCOPE_SE
	v_add_f64_e32 v[176:177], v[192:193], v[198:199]
	v_add_f64_e64 v[202:203], v[192:193], -v[198:199]
	v_add_f64_e32 v[178:179], v[194:195], v[200:201]
	v_add_f64_e64 v[204:205], v[194:195], -v[200:201]
	v_add_f64_e64 v[198:199], v[198:199], -v[184:185]
	;; [unrolled: 1-line block ×3, first 2 shown]
	v_add_f64_e32 v[206:207], v[172:173], v[180:181]
	v_add_f64_e32 v[208:209], v[174:175], v[182:183]
	v_add_f64_e64 v[212:213], v[174:175], -v[182:183]
	v_add_f64_e64 v[200:201], v[200:201], -v[186:187]
	;; [unrolled: 1-line block ×8, first 2 shown]
	v_add_f64_e32 v[176:177], v[184:185], v[176:177]
	v_add_f64_e32 v[178:179], v[186:187], v[178:179]
	;; [unrolled: 1-line block ×4, first 2 shown]
	v_mul_f64_e32 v[188:189], s[30:31], v[198:199]
	v_mul_f64_e32 v[198:199], s[14:15], v[192:193]
	s_wait_alu 0xfffe
	v_mul_f64_e32 v[208:209], s[26:27], v[212:213]
	v_mul_f64_e32 v[190:191], s[30:31], v[200:201]
	;; [unrolled: 1-line block ×6, first 2 shown]
	v_add_f64_e32 v[68:69], v[68:69], v[176:177]
	v_add_f64_e32 v[70:71], v[70:71], v[178:179]
	v_fma_f64 v[192:193], v[192:193], s[14:15], v[188:189]
	v_fma_f64 v[198:199], v[202:203], s[18:19], -v[198:199]
	v_fma_f64 v[182:183], v[182:183], s[10:11], -v[208:209]
	v_fma_f64 v[194:195], v[194:195], s[14:15], v[190:191]
	v_fma_f64 v[200:201], v[204:205], s[18:19], -v[200:201]
	v_fma_f64 v[188:189], v[202:203], s[20:21], -v[188:189]
	;; [unrolled: 1-line block ×3, first 2 shown]
	v_fma_f64 v[202:203], v[172:173], s[22:23], v[206:207]
	v_fma_f64 v[204:205], v[174:175], s[22:23], v[208:209]
	v_fma_f64 v[180:181], v[180:181], s[10:11], -v[206:207]
	v_fma_f64 v[172:173], v[172:173], s[16:17], v[210:211]
	v_fma_f64 v[174:175], v[174:175], s[16:17], v[212:213]
	;; [unrolled: 1-line block ×10, first 2 shown]
	v_add_f64_e32 v[198:199], v[198:199], v[176:177]
	v_add_f64_e32 v[188:189], v[188:189], v[176:177]
	;; [unrolled: 1-line block ×6, first 2 shown]
	v_add_f64_e64 v[180:181], v[198:199], -v[208:209]
	v_add_f64_e32 v[184:185], v[198:199], v[208:209]
	v_add_f64_e32 v[198:199], v[164:165], v[168:169]
	v_add_f64_e64 v[164:165], v[164:165], -v[168:169]
	v_add_f64_e32 v[168:169], v[156:157], v[160:161]
	v_add_f64_e32 v[182:183], v[206:207], v[200:201]
	v_add_f64_e64 v[186:187], v[200:201], -v[206:207]
	v_add_f64_e32 v[200:201], v[166:167], v[170:171]
	v_add_f64_e64 v[166:167], v[166:167], -v[170:171]
	;; [unrolled: 2-line block ×3, first 2 shown]
	v_add_f64_e64 v[158:159], v[158:159], -v[162:163]
	v_add_f64_e32 v[160:161], v[148:149], v[152:153]
	v_add_f64_e32 v[162:163], v[150:151], v[154:155]
	v_add_f64_e64 v[148:149], v[152:153], -v[148:149]
	v_add_f64_e64 v[150:151], v[154:155], -v[150:151]
	;; [unrolled: 1-line block ×3, first 2 shown]
	v_add_f64_e32 v[176:177], v[188:189], v[212:213]
	v_add_f64_e64 v[188:189], v[188:189], -v[212:213]
	v_add_f64_e32 v[194:195], v[202:203], v[194:195]
	v_add_f64_e32 v[172:173], v[192:193], v[204:205]
	v_add_f64_e64 v[178:179], v[190:191], -v[210:211]
	v_add_f64_e32 v[190:191], v[210:211], v[190:191]
	v_add_f64_e64 v[192:193], v[192:193], -v[204:205]
	v_add_f64_e32 v[152:153], v[168:169], v[198:199]
	v_add_f64_e64 v[202:203], v[168:169], -v[198:199]
	v_add_f64_e32 v[154:155], v[170:171], v[200:201]
	v_add_f64_e64 v[204:205], v[170:171], -v[200:201]
	v_add_f64_e64 v[198:199], v[198:199], -v[160:161]
	v_add_f64_e64 v[168:169], v[160:161], -v[168:169]
	v_add_f64_e32 v[206:207], v[148:149], v[156:157]
	v_add_f64_e32 v[208:209], v[150:151], v[158:159]
	v_add_f64_e64 v[212:213], v[150:151], -v[158:159]
	v_add_f64_e64 v[200:201], v[200:201], -v[162:163]
	;; [unrolled: 1-line block ×8, first 2 shown]
	v_add_f64_e32 v[152:153], v[160:161], v[152:153]
	v_add_f64_e32 v[154:155], v[162:163], v[154:155]
	;; [unrolled: 1-line block ×4, first 2 shown]
	v_mul_f64_e32 v[164:165], s[30:31], v[198:199]
	v_mul_f64_e32 v[198:199], s[14:15], v[168:169]
	v_mul_f64_e32 v[208:209], s[26:27], v[212:213]
	v_mul_f64_e32 v[166:167], s[30:31], v[200:201]
	v_mul_f64_e32 v[200:201], s[14:15], v[170:171]
	v_mul_f64_e32 v[206:207], s[26:27], v[210:211]
	v_mul_f64_e32 v[210:211], s[28:29], v[156:157]
	v_mul_f64_e32 v[212:213], s[28:29], v[158:159]
	v_add_f64_e32 v[64:65], v[64:65], v[152:153]
	v_add_f64_e32 v[66:67], v[66:67], v[154:155]
	v_fma_f64 v[168:169], v[168:169], s[14:15], v[164:165]
	v_fma_f64 v[198:199], v[202:203], s[18:19], -v[198:199]
	v_fma_f64 v[158:159], v[158:159], s[10:11], -v[208:209]
	v_fma_f64 v[170:171], v[170:171], s[14:15], v[166:167]
	v_fma_f64 v[200:201], v[204:205], s[18:19], -v[200:201]
	v_fma_f64 v[164:165], v[202:203], s[20:21], -v[164:165]
	;; [unrolled: 1-line block ×3, first 2 shown]
	v_fma_f64 v[202:203], v[148:149], s[22:23], v[206:207]
	v_fma_f64 v[204:205], v[150:151], s[22:23], v[208:209]
	v_fma_f64 v[156:157], v[156:157], s[10:11], -v[206:207]
	v_fma_f64 v[148:149], v[148:149], s[16:17], v[210:211]
	v_fma_f64 v[150:151], v[150:151], s[16:17], v[212:213]
	v_fma_f64 v[152:153], v[152:153], s[24:25], v[64:65]
	v_fma_f64 v[154:155], v[154:155], s[24:25], v[66:67]
	v_fma_f64 v[208:209], v[162:163], s[8:9], v[158:159]
	v_fma_f64 v[202:203], v[160:161], s[8:9], v[202:203]
	v_fma_f64 v[204:205], v[162:163], s[8:9], v[204:205]
	v_fma_f64 v[206:207], v[160:161], s[8:9], v[156:157]
	v_fma_f64 v[210:211], v[160:161], s[8:9], v[148:149]
	v_fma_f64 v[212:213], v[162:163], s[8:9], v[150:151]
	v_add_f64_e32 v[198:199], v[198:199], v[152:153]
	v_add_f64_e32 v[164:165], v[164:165], v[152:153]
	;; [unrolled: 1-line block ×6, first 2 shown]
	v_add_f64_e64 v[156:157], v[198:199], -v[208:209]
	v_add_f64_e32 v[160:161], v[198:199], v[208:209]
	v_add_f64_e32 v[198:199], v[140:141], v[144:145]
	v_add_f64_e64 v[140:141], v[140:141], -v[144:145]
	v_add_f64_e32 v[144:145], v[132:133], v[136:137]
	v_add_f64_e32 v[158:159], v[206:207], v[200:201]
	v_add_f64_e64 v[162:163], v[200:201], -v[206:207]
	v_add_f64_e32 v[200:201], v[142:143], v[146:147]
	v_add_f64_e64 v[142:143], v[142:143], -v[146:147]
	;; [unrolled: 2-line block ×3, first 2 shown]
	v_add_f64_e64 v[134:135], v[134:135], -v[138:139]
	v_add_f64_e32 v[136:137], v[124:125], v[128:129]
	v_add_f64_e32 v[138:139], v[126:127], v[130:131]
	v_add_f64_e64 v[124:125], v[128:129], -v[124:125]
	v_add_f64_e64 v[126:127], v[130:131], -v[126:127]
	;; [unrolled: 1-line block ×3, first 2 shown]
	v_add_f64_e32 v[152:153], v[164:165], v[212:213]
	v_add_f64_e64 v[164:165], v[164:165], -v[212:213]
	v_add_f64_e32 v[170:171], v[202:203], v[170:171]
	v_add_f64_e32 v[148:149], v[168:169], v[204:205]
	v_add_f64_e64 v[154:155], v[166:167], -v[210:211]
	v_add_f64_e32 v[166:167], v[210:211], v[166:167]
	v_add_f64_e64 v[168:169], v[168:169], -v[204:205]
	;; [unrolled: 2-line block ×4, first 2 shown]
	v_add_f64_e64 v[198:199], v[198:199], -v[136:137]
	v_add_f64_e64 v[144:145], v[136:137], -v[144:145]
	v_add_f64_e32 v[206:207], v[124:125], v[132:133]
	v_add_f64_e32 v[208:209], v[126:127], v[134:135]
	v_add_f64_e64 v[212:213], v[126:127], -v[134:135]
	v_add_f64_e64 v[200:201], v[200:201], -v[138:139]
	;; [unrolled: 1-line block ×8, first 2 shown]
	v_add_f64_e32 v[128:129], v[136:137], v[128:129]
	v_add_f64_e32 v[130:131], v[138:139], v[130:131]
	v_add_f64_e32 v[136:137], v[206:207], v[140:141]
	v_add_f64_e32 v[138:139], v[208:209], v[142:143]
	v_mul_f64_e32 v[140:141], s[30:31], v[198:199]
	v_mul_f64_e32 v[198:199], s[14:15], v[144:145]
	;; [unrolled: 1-line block ×8, first 2 shown]
	v_add_f64_e32 v[60:61], v[60:61], v[128:129]
	v_add_f64_e32 v[62:63], v[62:63], v[130:131]
	v_fma_f64 v[144:145], v[144:145], s[14:15], v[140:141]
	v_fma_f64 v[198:199], v[202:203], s[18:19], -v[198:199]
	v_fma_f64 v[134:135], v[134:135], s[10:11], -v[208:209]
	v_fma_f64 v[146:147], v[146:147], s[14:15], v[142:143]
	v_fma_f64 v[200:201], v[204:205], s[18:19], -v[200:201]
	v_fma_f64 v[140:141], v[202:203], s[20:21], -v[140:141]
	;; [unrolled: 1-line block ×3, first 2 shown]
	v_fma_f64 v[202:203], v[124:125], s[22:23], v[206:207]
	v_fma_f64 v[204:205], v[126:127], s[22:23], v[208:209]
	v_fma_f64 v[132:133], v[132:133], s[10:11], -v[206:207]
	v_fma_f64 v[124:125], v[124:125], s[16:17], v[210:211]
	v_fma_f64 v[126:127], v[126:127], s[16:17], v[212:213]
	;; [unrolled: 1-line block ×10, first 2 shown]
	v_add_f64_e32 v[198:199], v[198:199], v[128:129]
	v_add_f64_e32 v[140:141], v[140:141], v[128:129]
	;; [unrolled: 1-line block ×6, first 2 shown]
	v_add_f64_e64 v[132:133], v[198:199], -v[208:209]
	v_add_f64_e32 v[136:137], v[198:199], v[208:209]
	v_add_f64_e32 v[198:199], v[116:117], v[120:121]
	v_add_f64_e64 v[116:117], v[116:117], -v[120:121]
	v_add_f64_e32 v[120:121], v[108:109], v[112:113]
	v_add_f64_e32 v[134:135], v[206:207], v[200:201]
	v_add_f64_e64 v[138:139], v[200:201], -v[206:207]
	v_add_f64_e32 v[200:201], v[118:119], v[122:123]
	v_add_f64_e64 v[118:119], v[118:119], -v[122:123]
	;; [unrolled: 2-line block ×3, first 2 shown]
	v_add_f64_e64 v[110:111], v[110:111], -v[114:115]
	v_add_f64_e32 v[112:113], v[100:101], v[104:105]
	v_add_f64_e32 v[114:115], v[102:103], v[106:107]
	v_add_f64_e64 v[100:101], v[104:105], -v[100:101]
	v_add_f64_e64 v[102:103], v[106:107], -v[102:103]
	;; [unrolled: 1-line block ×3, first 2 shown]
	v_add_f64_e32 v[128:129], v[140:141], v[212:213]
	v_add_f64_e64 v[140:141], v[140:141], -v[212:213]
	v_add_f64_e32 v[146:147], v[202:203], v[146:147]
	v_add_f64_e32 v[124:125], v[144:145], v[204:205]
	v_add_f64_e64 v[130:131], v[142:143], -v[210:211]
	v_add_f64_e32 v[142:143], v[210:211], v[142:143]
	v_add_f64_e64 v[144:145], v[144:145], -v[204:205]
	;; [unrolled: 2-line block ×4, first 2 shown]
	v_add_f64_e64 v[198:199], v[198:199], -v[112:113]
	v_add_f64_e64 v[120:121], v[112:113], -v[120:121]
	v_add_f64_e32 v[206:207], v[100:101], v[108:109]
	v_add_f64_e32 v[208:209], v[102:103], v[110:111]
	v_add_f64_e64 v[212:213], v[102:103], -v[110:111]
	v_add_f64_e64 v[200:201], v[200:201], -v[114:115]
	;; [unrolled: 1-line block ×8, first 2 shown]
	v_add_f64_e32 v[104:105], v[112:113], v[104:105]
	v_add_f64_e32 v[106:107], v[114:115], v[106:107]
	v_add_f64_e32 v[112:113], v[206:207], v[116:117]
	v_add_f64_e32 v[114:115], v[208:209], v[118:119]
	v_mul_f64_e32 v[116:117], s[30:31], v[198:199]
	v_mul_f64_e32 v[198:199], s[14:15], v[120:121]
	;; [unrolled: 1-line block ×8, first 2 shown]
	v_add_f64_e32 v[56:57], v[56:57], v[104:105]
	v_add_f64_e32 v[58:59], v[58:59], v[106:107]
	v_fma_f64 v[120:121], v[120:121], s[14:15], v[116:117]
	v_fma_f64 v[198:199], v[202:203], s[18:19], -v[198:199]
	v_fma_f64 v[110:111], v[110:111], s[10:11], -v[208:209]
	v_fma_f64 v[122:123], v[122:123], s[14:15], v[118:119]
	v_fma_f64 v[200:201], v[204:205], s[18:19], -v[200:201]
	v_fma_f64 v[116:117], v[202:203], s[20:21], -v[116:117]
	;; [unrolled: 1-line block ×3, first 2 shown]
	v_fma_f64 v[202:203], v[100:101], s[22:23], v[206:207]
	v_fma_f64 v[204:205], v[102:103], s[22:23], v[208:209]
	v_fma_f64 v[108:109], v[108:109], s[10:11], -v[206:207]
	v_fma_f64 v[100:101], v[100:101], s[16:17], v[210:211]
	v_fma_f64 v[102:103], v[102:103], s[16:17], v[212:213]
	;; [unrolled: 1-line block ×10, first 2 shown]
	v_add_f64_e32 v[198:199], v[198:199], v[104:105]
	v_add_f64_e32 v[116:117], v[116:117], v[104:105]
	;; [unrolled: 1-line block ×6, first 2 shown]
	v_add_f64_e64 v[108:109], v[198:199], -v[208:209]
	v_add_f64_e32 v[112:113], v[198:199], v[208:209]
	v_add_f64_e32 v[198:199], v[92:93], v[96:97]
	v_add_f64_e64 v[92:93], v[92:93], -v[96:97]
	v_add_f64_e32 v[96:97], v[84:85], v[88:89]
	v_add_f64_e32 v[110:111], v[206:207], v[200:201]
	v_add_f64_e64 v[114:115], v[200:201], -v[206:207]
	v_add_f64_e32 v[200:201], v[94:95], v[98:99]
	v_add_f64_e64 v[94:95], v[94:95], -v[98:99]
	;; [unrolled: 2-line block ×3, first 2 shown]
	v_add_f64_e64 v[86:87], v[86:87], -v[90:91]
	v_add_f64_e32 v[88:89], v[76:77], v[80:81]
	v_add_f64_e32 v[90:91], v[78:79], v[82:83]
	v_add_f64_e64 v[76:77], v[80:81], -v[76:77]
	v_add_f64_e64 v[78:79], v[82:83], -v[78:79]
	v_add_f64_e64 v[102:103], v[122:123], -v[202:203]
	v_add_f64_e32 v[104:105], v[116:117], v[212:213]
	v_add_f64_e64 v[116:117], v[116:117], -v[212:213]
	v_add_f64_e32 v[122:123], v[202:203], v[122:123]
	v_add_f64_e32 v[100:101], v[120:121], v[204:205]
	v_add_f64_e64 v[106:107], v[118:119], -v[210:211]
	v_add_f64_e32 v[118:119], v[210:211], v[118:119]
	v_add_f64_e64 v[120:121], v[120:121], -v[204:205]
	;; [unrolled: 2-line block ×4, first 2 shown]
	v_add_f64_e64 v[198:199], v[198:199], -v[88:89]
	v_add_f64_e64 v[96:97], v[88:89], -v[96:97]
	v_add_f64_e32 v[206:207], v[76:77], v[84:85]
	v_add_f64_e32 v[208:209], v[78:79], v[86:87]
	v_add_f64_e64 v[212:213], v[78:79], -v[86:87]
	v_add_f64_e64 v[200:201], v[200:201], -v[90:91]
	;; [unrolled: 1-line block ×8, first 2 shown]
	v_add_f64_e32 v[80:81], v[88:89], v[80:81]
	v_add_f64_e32 v[82:83], v[90:91], v[82:83]
	;; [unrolled: 1-line block ×4, first 2 shown]
	v_mul_f64_e32 v[92:93], s[30:31], v[198:199]
	v_mul_f64_e32 v[198:199], s[14:15], v[96:97]
	;; [unrolled: 1-line block ×8, first 2 shown]
	v_add_f64_e32 v[48:49], v[48:49], v[80:81]
	v_add_f64_e32 v[50:51], v[50:51], v[82:83]
	v_fma_f64 v[96:97], v[96:97], s[14:15], v[92:93]
	v_fma_f64 v[198:199], v[202:203], s[18:19], -v[198:199]
	v_fma_f64 v[86:87], v[86:87], s[10:11], -v[208:209]
	v_fma_f64 v[98:99], v[98:99], s[14:15], v[94:95]
	v_fma_f64 v[200:201], v[204:205], s[18:19], -v[200:201]
	v_fma_f64 v[92:93], v[202:203], s[20:21], -v[92:93]
	;; [unrolled: 1-line block ×3, first 2 shown]
	v_fma_f64 v[202:203], v[76:77], s[22:23], v[206:207]
	v_fma_f64 v[204:205], v[78:79], s[22:23], v[208:209]
	v_fma_f64 v[84:85], v[84:85], s[10:11], -v[206:207]
	v_fma_f64 v[76:77], v[76:77], s[16:17], v[210:211]
	v_fma_f64 v[78:79], v[78:79], s[16:17], v[212:213]
	;; [unrolled: 1-line block ×10, first 2 shown]
	v_add_f64_e32 v[198:199], v[198:199], v[80:81]
	v_add_f64_e32 v[92:93], v[92:93], v[80:81]
	;; [unrolled: 1-line block ×6, first 2 shown]
	v_add_f64_e64 v[84:85], v[198:199], -v[208:209]
	v_add_f64_e32 v[88:89], v[198:199], v[208:209]
	v_add_f64_e32 v[198:199], v[4:5], v[0:1]
	v_add_f64_e64 v[0:1], v[4:5], -v[0:1]
	v_add_f64_e32 v[4:5], v[12:13], v[8:9]
	v_add_f64_e32 v[86:87], v[206:207], v[200:201]
	v_add_f64_e64 v[90:91], v[200:201], -v[206:207]
	v_add_f64_e32 v[200:201], v[6:7], v[2:3]
	v_add_f64_e64 v[2:3], v[6:7], -v[2:3]
	;; [unrolled: 2-line block ×3, first 2 shown]
	v_add_f64_e64 v[10:11], v[14:15], -v[10:11]
	v_add_f64_e32 v[12:13], v[20:21], v[16:17]
	v_add_f64_e32 v[14:15], v[22:23], v[18:19]
	v_add_f64_e64 v[16:17], v[16:17], -v[20:21]
	v_add_f64_e64 v[18:19], v[18:19], -v[22:23]
	;; [unrolled: 1-line block ×3, first 2 shown]
	v_add_f64_e32 v[80:81], v[92:93], v[212:213]
	v_add_f64_e64 v[92:93], v[92:93], -v[212:213]
	v_add_f64_e32 v[98:99], v[202:203], v[98:99]
	v_add_f64_e32 v[76:77], v[96:97], v[204:205]
	v_add_f64_e64 v[82:83], v[94:95], -v[210:211]
	v_add_f64_e32 v[94:95], v[210:211], v[94:95]
	v_add_f64_e64 v[96:97], v[96:97], -v[204:205]
	;; [unrolled: 2-line block ×4, first 2 shown]
	v_add_f64_e64 v[198:199], v[198:199], -v[12:13]
	v_add_f64_e64 v[4:5], v[12:13], -v[4:5]
	v_add_f64_e32 v[206:207], v[16:17], v[8:9]
	v_add_f64_e32 v[208:209], v[18:19], v[10:11]
	v_add_f64_e64 v[212:213], v[18:19], -v[10:11]
	v_add_f64_e64 v[200:201], v[200:201], -v[14:15]
	v_add_f64_e64 v[6:7], v[14:15], -v[6:7]
	v_add_f64_e64 v[210:211], v[16:17], -v[8:9]
	v_add_f64_e64 v[16:17], v[0:1], -v[16:17]
	v_add_f64_e64 v[8:9], v[8:9], -v[0:1]
	v_add_f64_e64 v[10:11], v[10:11], -v[2:3]
	v_add_f64_e64 v[18:19], v[2:3], -v[18:19]
	v_add_f64_e32 v[12:13], v[12:13], v[20:21]
	v_add_f64_e32 v[14:15], v[14:15], v[22:23]
	v_add_f64_e32 v[20:21], v[206:207], v[0:1]
	v_add_f64_e32 v[22:23], v[208:209], v[2:3]
	v_mul_f64_e32 v[208:209], s[26:27], v[212:213]
	v_mul_f64_e32 v[206:207], s[26:27], v[210:211]
	;; [unrolled: 1-line block ×4, first 2 shown]
	v_add_f64_e32 v[0:1], v[52:53], v[12:13]
	v_mul_f64_e32 v[52:53], s[30:31], v[198:199]
	v_mul_f64_e32 v[198:199], s[14:15], v[4:5]
	v_add_f64_e32 v[2:3], v[54:55], v[14:15]
	v_mul_f64_e32 v[54:55], s[30:31], v[200:201]
	v_mul_f64_e32 v[200:201], s[14:15], v[6:7]
	v_fma_f64 v[10:11], v[10:11], s[10:11], -v[208:209]
	v_fma_f64 v[8:9], v[8:9], s[10:11], -v[206:207]
	v_fma_f64 v[12:13], v[12:13], s[24:25], v[0:1]
	v_fma_f64 v[4:5], v[4:5], s[14:15], v[52:53]
	v_fma_f64 v[198:199], v[202:203], s[18:19], -v[198:199]
	v_fma_f64 v[52:53], v[202:203], s[20:21], -v[52:53]
	v_fma_f64 v[202:203], v[16:17], s[22:23], v[206:207]
	v_fma_f64 v[14:15], v[14:15], s[24:25], v[2:3]
	;; [unrolled: 1-line block ×3, first 2 shown]
	v_fma_f64 v[200:201], v[204:205], s[18:19], -v[200:201]
	v_fma_f64 v[6:7], v[6:7], s[14:15], v[54:55]
	v_fma_f64 v[54:55], v[204:205], s[20:21], -v[54:55]
	v_fma_f64 v[204:205], v[18:19], s[22:23], v[208:209]
	v_fma_f64 v[18:19], v[18:19], s[16:17], v[212:213]
	;; [unrolled: 1-line block ×4, first 2 shown]
	v_add_f64_e32 v[4:5], v[4:5], v[12:13]
	v_add_f64_e32 v[198:199], v[198:199], v[12:13]
	;; [unrolled: 1-line block ×3, first 2 shown]
	v_fma_f64 v[202:203], v[20:21], s[8:9], v[202:203]
	v_fma_f64 v[210:211], v[20:21], s[8:9], v[16:17]
	v_add_f64_e32 v[200:201], v[200:201], v[14:15]
	v_add_f64_e32 v[6:7], v[6:7], v[14:15]
	v_add_f64_e32 v[208:209], v[54:55], v[14:15]
	v_fma_f64 v[204:205], v[22:23], s[8:9], v[204:205]
	v_fma_f64 v[212:213], v[22:23], s[8:9], v[18:19]
	v_add_f64_e64 v[16:17], v[198:199], -v[10:11]
	v_add_f64_e32 v[12:13], v[198:199], v[10:11]
	v_add_f64_e32 v[198:199], v[28:29], v[24:25]
	v_add_f64_e64 v[24:25], v[28:29], -v[24:25]
	v_add_f64_e32 v[28:29], v[32:33], v[36:37]
	v_add_f64_e32 v[18:19], v[8:9], v[200:201]
	v_add_f64_e64 v[14:15], v[200:201], -v[8:9]
	v_add_f64_e32 v[200:201], v[30:31], v[26:27]
	v_add_f64_e64 v[26:27], v[30:31], -v[26:27]
	;; [unrolled: 2-line block ×3, first 2 shown]
	v_add_f64_e64 v[34:35], v[34:35], -v[38:39]
	v_add_f64_e32 v[36:37], v[44:45], v[40:41]
	v_add_f64_e32 v[38:39], v[46:47], v[42:43]
	v_add_f64_e64 v[40:41], v[40:41], -v[44:45]
	v_add_f64_e64 v[42:43], v[42:43], -v[46:47]
	;; [unrolled: 1-line block ×3, first 2 shown]
	v_add_f64_e32 v[20:21], v[206:207], v[212:213]
	v_add_f64_e64 v[22:23], v[208:209], -v[210:211]
	v_add_f64_e64 v[8:9], v[206:207], -v[212:213]
	v_add_f64_e32 v[10:11], v[210:211], v[208:209]
	v_add_f64_e32 v[6:7], v[202:203], v[6:7]
	;; [unrolled: 1-line block ×3, first 2 shown]
	v_add_f64_e64 v[4:5], v[4:5], -v[204:205]
	v_add_f64_e32 v[44:45], v[28:29], v[198:199]
	v_add_f64_e64 v[202:203], v[28:29], -v[198:199]
	v_add_f64_e32 v[46:47], v[30:31], v[200:201]
	v_add_f64_e64 v[204:205], v[30:31], -v[200:201]
	v_add_f64_e64 v[198:199], v[198:199], -v[36:37]
	;; [unrolled: 1-line block ×3, first 2 shown]
	v_add_f64_e32 v[206:207], v[40:41], v[32:33]
	v_add_f64_e32 v[208:209], v[42:43], v[34:35]
	v_add_f64_e64 v[212:213], v[42:43], -v[34:35]
	v_add_f64_e64 v[200:201], v[200:201], -v[38:39]
	;; [unrolled: 1-line block ×8, first 2 shown]
	v_add_f64_e32 v[36:37], v[36:37], v[44:45]
	v_add_f64_e32 v[38:39], v[38:39], v[46:47]
	;; [unrolled: 1-line block ×4, first 2 shown]
	v_mul_f64_e32 v[208:209], s[26:27], v[212:213]
	v_mul_f64_e32 v[206:207], s[26:27], v[210:211]
	;; [unrolled: 1-line block ×4, first 2 shown]
	v_add_f64_e32 v[24:25], v[72:73], v[36:37]
	v_mul_f64_e32 v[72:73], s[30:31], v[198:199]
	v_mul_f64_e32 v[198:199], s[14:15], v[28:29]
	v_add_f64_e32 v[26:27], v[74:75], v[38:39]
	v_mul_f64_e32 v[74:75], s[30:31], v[200:201]
	v_mul_f64_e32 v[200:201], s[14:15], v[30:31]
	v_fma_f64 v[34:35], v[34:35], s[10:11], -v[208:209]
	v_fma_f64 v[32:33], v[32:33], s[10:11], -v[206:207]
	v_fma_f64 v[36:37], v[36:37], s[24:25], v[24:25]
	v_fma_f64 v[28:29], v[28:29], s[14:15], v[72:73]
	v_fma_f64 v[198:199], v[202:203], s[18:19], -v[198:199]
	v_fma_f64 v[72:73], v[202:203], s[20:21], -v[72:73]
	v_fma_f64 v[202:203], v[40:41], s[22:23], v[206:207]
	v_fma_f64 v[40:41], v[40:41], s[16:17], v[210:211]
	;; [unrolled: 1-line block ×4, first 2 shown]
	v_fma_f64 v[200:201], v[204:205], s[18:19], -v[200:201]
	v_fma_f64 v[74:75], v[204:205], s[20:21], -v[74:75]
	v_fma_f64 v[204:205], v[42:43], s[22:23], v[208:209]
	v_fma_f64 v[42:43], v[42:43], s[16:17], v[212:213]
	;; [unrolled: 1-line block ×4, first 2 shown]
	v_add_f64_e32 v[28:29], v[28:29], v[36:37]
	v_add_f64_e32 v[198:199], v[198:199], v[36:37]
	;; [unrolled: 1-line block ×3, first 2 shown]
	v_fma_f64 v[202:203], v[44:45], s[8:9], v[202:203]
	v_fma_f64 v[210:211], v[44:45], s[8:9], v[40:41]
	v_add_f64_e32 v[30:31], v[30:31], v[38:39]
	v_add_f64_e32 v[200:201], v[200:201], v[38:39]
	;; [unrolled: 1-line block ×3, first 2 shown]
	v_fma_f64 v[204:205], v[46:47], s[8:9], v[204:205]
	v_fma_f64 v[212:213], v[46:47], s[8:9], v[42:43]
	v_add_f64_e64 v[40:41], v[198:199], -v[34:35]
	v_add_f64_e32 v[36:37], v[198:199], v[34:35]
	scratch_load_b32 v198, off, off offset:2760 th:TH_LOAD_LU ; 4-byte Folded Reload
	s_wait_loadcnt 0x0
	ds_store_b128 v198, v[68:71]
	ds_store_b128 v198, v[172:175] offset:16
	ds_store_b128 v198, v[176:179] offset:32
	ds_store_b128 v198, v[180:183] offset:48
	ds_store_b128 v198, v[184:187] offset:64
	ds_store_b128 v198, v[188:191] offset:80
	ds_store_b128 v198, v[192:195] offset:96
	scratch_load_b32 v68, off, off offset:2752 th:TH_LOAD_LU ; 4-byte Folded Reload
	s_wait_loadcnt 0x0
	ds_store_b128 v68, v[64:67]
	ds_store_b128 v68, v[148:151] offset:16
	ds_store_b128 v68, v[152:155] offset:32
	ds_store_b128 v68, v[156:159] offset:48
	ds_store_b128 v68, v[160:163] offset:64
	ds_store_b128 v68, v[164:167] offset:80
	ds_store_b128 v68, v[168:171] offset:96
	scratch_load_b32 v64, off, off offset:2744 th:TH_LOAD_LU ; 4-byte Folded Reload
	s_wait_loadcnt 0x0
	ds_store_b128 v64, v[60:63]
	ds_store_b128 v64, v[124:127] offset:16
	ds_store_b128 v64, v[128:131] offset:32
	ds_store_b128 v64, v[132:135] offset:48
	ds_store_b128 v64, v[136:139] offset:64
	ds_store_b128 v64, v[140:143] offset:80
	ds_store_b128 v64, v[144:147] offset:96
	scratch_load_b32 v60, off, off offset:2640 th:TH_LOAD_LU ; 4-byte Folded Reload
	s_wait_loadcnt 0x0
	ds_store_b128 v60, v[56:59]
	ds_store_b128 v60, v[100:103] offset:16
	ds_store_b128 v60, v[104:107] offset:32
	ds_store_b128 v60, v[108:111] offset:48
	ds_store_b128 v60, v[112:115] offset:64
	ds_store_b128 v60, v[116:119] offset:80
	ds_store_b128 v60, v[120:123] offset:96
	scratch_load_b32 v56, off, off offset:2408 th:TH_LOAD_LU ; 4-byte Folded Reload
	s_wait_loadcnt 0x0
	ds_store_b128 v56, v[48:51]
	ds_store_b128 v56, v[76:79] offset:16
	ds_store_b128 v56, v[80:83] offset:32
	ds_store_b128 v56, v[84:87] offset:48
	ds_store_b128 v56, v[88:91] offset:64
	ds_store_b128 v56, v[92:95] offset:80
	ds_store_b128 v56, v[96:99] offset:96
	scratch_load_b32 v48, off, off offset:1836 th:TH_LOAD_LU ; 4-byte Folded Reload
	s_wait_loadcnt 0x0
	ds_store_b128 v48, v[0:3]
	ds_store_b128 v48, v[52:55] offset:16
	ds_store_b128 v48, v[20:23] offset:32
	ds_store_b128 v48, v[16:19] offset:48
	ds_store_b128 v48, v[12:15] offset:64
	ds_store_b128 v48, v[8:11] offset:80
	ds_store_b128 v48, v[4:7] offset:96
	scratch_load_b32 v0, off, off offset:1116 th:TH_LOAD_LU ; 4-byte Folded Reload
	v_add_f64_e32 v[72:73], v[28:29], v[204:205]
	v_add_f64_e64 v[74:75], v[30:31], -v[202:203]
	v_add_f64_e32 v[44:45], v[206:207], v[212:213]
	v_add_f64_e64 v[46:47], v[208:209], -v[210:211]
	;; [unrolled: 2-line block ×3, first 2 shown]
	v_add_f64_e64 v[32:33], v[206:207], -v[212:213]
	v_add_f64_e32 v[34:35], v[210:211], v[208:209]
	v_add_f64_e64 v[28:29], v[28:29], -v[204:205]
	v_add_f64_e32 v[30:31], v[202:203], v[30:31]
	s_wait_loadcnt 0x0
	ds_store_b128 v0, v[24:27]
	ds_store_b128 v0, v[72:75] offset:16
	ds_store_b128 v0, v[44:47] offset:32
	;; [unrolled: 1-line block ×6, first 2 shown]
	global_wb scope:SCOPE_SE
	s_wait_dscnt 0x0
	s_barrier_signal -1
	s_barrier_wait -1
	global_inv scope:SCOPE_SE
	ds_load_b128 v[24:27], v196
	ds_load_b128 v[192:195], v196 offset:5488
	ds_load_b128 v[188:191], v196 offset:10976
	;; [unrolled: 1-line block ×48, first 2 shown]
	s_clause 0x1
	scratch_load_b128 v[2:5], off, off offset:1560 th:TH_LOAD_LU
	scratch_load_b128 v[8:11], off, off offset:1692 th:TH_LOAD_LU
	s_wait_loadcnt_dscnt 0x12f
	v_mul_f64_e32 v[0:1], v[4:5], v[194:195]
	s_delay_alu instid0(VALU_DEP_1) | instskip(SKIP_1) | instid1(VALU_DEP_1)
	v_fma_f64 v[198:199], v[2:3], v[192:193], v[0:1]
	v_mul_f64_e32 v[0:1], v[4:5], v[192:193]
	v_fma_f64 v[192:193], v[2:3], v[194:195], -v[0:1]
	scratch_load_b128 v[2:5], off, off offset:1576 th:TH_LOAD_LU ; 16-byte Folded Reload
	s_wait_loadcnt_dscnt 0x2e
	v_mul_f64_e32 v[0:1], v[4:5], v[190:191]
	s_delay_alu instid0(VALU_DEP_1) | instskip(SKIP_1) | instid1(VALU_DEP_1)
	v_fma_f64 v[194:195], v[2:3], v[188:189], v[0:1]
	v_mul_f64_e32 v[0:1], v[4:5], v[188:189]
	v_fma_f64 v[188:189], v[2:3], v[190:191], -v[0:1]
	scratch_load_b128 v[2:5], off, off offset:1592 th:TH_LOAD_LU ; 16-byte Folded Reload
	;; [unrolled: 7-line block ×3, first 2 shown]
	s_wait_loadcnt_dscnt 0x2c
	v_mul_f64_e32 v[0:1], v[4:5], v[182:183]
	s_delay_alu instid0(VALU_DEP_1) | instskip(SKIP_1) | instid1(VALU_DEP_1)
	v_fma_f64 v[186:187], v[2:3], v[180:181], v[0:1]
	v_mul_f64_e32 v[0:1], v[4:5], v[180:181]
	v_fma_f64 v[206:207], v[2:3], v[182:183], -v[0:1]
	s_wait_dscnt 0x2b
	v_mul_f64_e32 v[0:1], v[10:11], v[178:179]
	v_mul_f64_e32 v[2:3], v[10:11], v[176:177]
	s_delay_alu instid0(VALU_DEP_2) | instskip(NEXT) | instid1(VALU_DEP_2)
	v_fma_f64 v[6:7], v[8:9], v[176:177], v[0:1]
	v_fma_f64 v[4:5], v[8:9], v[178:179], -v[2:3]
	scratch_load_b128 v[8:11], off, off offset:1708 th:TH_LOAD_LU ; 16-byte Folded Reload
	s_wait_loadcnt_dscnt 0x2a
	v_mul_f64_e32 v[2:3], v[10:11], v[170:171]
	s_delay_alu instid0(VALU_DEP_1) | instskip(SKIP_1) | instid1(VALU_DEP_1)
	v_fma_f64 v[0:1], v[8:9], v[168:169], v[2:3]
	v_mul_f64_e32 v[2:3], v[10:11], v[168:169]
	v_fma_f64 v[212:213], v[8:9], v[170:171], -v[2:3]
	scratch_load_b128 v[8:11], off, off offset:1856 th:TH_LOAD_LU ; 16-byte Folded Reload
	s_wait_loadcnt_dscnt 0x28
	v_mul_f64_e32 v[2:3], v[10:11], v[174:175]
	s_delay_alu instid0(VALU_DEP_1) | instskip(SKIP_1) | instid1(VALU_DEP_1)
	v_fma_f64 v[168:169], v[8:9], v[172:173], v[2:3]
	v_mul_f64_e32 v[2:3], v[10:11], v[172:173]
	;; [unrolled: 7-line block ×11, first 2 shown]
	v_fma_f64 v[154:155], v[8:9], v[134:135], -v[2:3]
	scratch_load_b128 v[132:135], off, off offset:2308 th:TH_LOAD_LU ; 16-byte Folded Reload
	s_wait_loadcnt_dscnt 0x1d
	v_mul_f64_e32 v[2:3], v[134:135], v[130:131]
	v_mul_f64_e32 v[8:9], v[134:135], v[128:129]
	s_delay_alu instid0(VALU_DEP_2) | instskip(NEXT) | instid1(VALU_DEP_2)
	v_fma_f64 v[2:3], v[132:133], v[128:129], v[2:3]
	v_fma_f64 v[128:129], v[132:133], v[130:131], -v[8:9]
	scratch_load_b128 v[132:135], off, off offset:2324 th:TH_LOAD_LU ; 16-byte Folded Reload
	s_wait_loadcnt_dscnt 0x1c
	v_mul_f64_e32 v[8:9], v[134:135], v[126:127]
	s_delay_alu instid0(VALU_DEP_1) | instskip(SKIP_1) | instid1(VALU_DEP_1)
	v_fma_f64 v[130:131], v[132:133], v[124:125], v[8:9]
	v_mul_f64_e32 v[8:9], v[134:135], v[124:125]
	v_fma_f64 v[124:125], v[132:133], v[126:127], -v[8:9]
	scratch_load_b128 v[132:135], off, off offset:2344 th:TH_LOAD_LU ; 16-byte Folded Reload
	s_wait_loadcnt_dscnt 0x1a
	v_mul_f64_e32 v[8:9], v[134:135], v[122:123]
	s_delay_alu instid0(VALU_DEP_1) | instskip(SKIP_1) | instid1(VALU_DEP_1)
	v_fma_f64 v[126:127], v[132:133], v[120:121], v[8:9]
	v_mul_f64_e32 v[8:9], v[134:135], v[120:121]
	;; [unrolled: 7-line block ×18, first 2 shown]
	v_fma_f64 v[254:255], v[62:63], v[58:59], -v[56:57]
	scratch_load_b128 v[58:61], off, off offset:2624 th:TH_LOAD_LU ; 16-byte Folded Reload
	s_wait_loadcnt_dscnt 0x7
	v_mul_f64_e32 v[56:57], v[60:61], v[54:55]
	s_delay_alu instid0(VALU_DEP_1)
	v_fma_f64 v[56:57], v[58:59], v[52:53], v[56:57]
	v_mul_f64_e32 v[52:53], v[60:61], v[52:53]
	scratch_load_b128 v[60:63], off, off offset:2648 th:TH_LOAD_LU ; 16-byte Folded Reload
	v_fma_f64 v[52:53], v[58:59], v[54:55], -v[52:53]
	s_wait_loadcnt_dscnt 0x5
	v_mul_f64_e32 v[54:55], v[62:63], v[50:51]
	s_delay_alu instid0(VALU_DEP_1) | instskip(SKIP_1) | instid1(VALU_DEP_1)
	v_fma_f64 v[58:59], v[60:61], v[48:49], v[54:55]
	v_mul_f64_e32 v[48:49], v[62:63], v[48:49]
	v_fma_f64 v[50:51], v[60:61], v[50:51], -v[48:49]
	scratch_load_b128 v[60:63], off, off offset:2664 th:TH_LOAD_LU ; 16-byte Folded Reload
	s_wait_loadcnt_dscnt 0x4
	v_mul_f64_e32 v[48:49], v[62:63], v[46:47]
	s_delay_alu instid0(VALU_DEP_1) | instskip(SKIP_1) | instid1(VALU_DEP_1)
	v_fma_f64 v[48:49], v[60:61], v[44:45], v[48:49]
	v_mul_f64_e32 v[44:45], v[62:63], v[44:45]
	v_fma_f64 v[44:45], v[60:61], v[46:47], -v[44:45]
	scratch_load_b128 v[60:63], off, off offset:2680 th:TH_LOAD_LU ; 16-byte Folded Reload
	s_wait_loadcnt_dscnt 0x3
	v_mul_f64_e32 v[46:47], v[62:63], v[42:43]
	s_delay_alu instid0(VALU_DEP_1)
	v_fma_f64 v[46:47], v[60:61], v[40:41], v[46:47]
	v_mul_f64_e32 v[40:41], v[62:63], v[40:41]
	scratch_load_b128 v[62:65], off, off offset:2696 th:TH_LOAD_LU ; 16-byte Folded Reload
	v_fma_f64 v[86:87], v[60:61], v[42:43], -v[40:41]
	v_add_f64_e64 v[42:43], v[186:187], -v[190:191]
	s_wait_loadcnt_dscnt 0x2
	v_mul_f64_e32 v[40:41], v[64:65], v[38:39]
	s_delay_alu instid0(VALU_DEP_1) | instskip(SKIP_2) | instid1(VALU_DEP_2)
	v_fma_f64 v[60:61], v[62:63], v[36:37], v[40:41]
	v_mul_f64_e32 v[36:37], v[64:65], v[36:37]
	v_add_f64_e64 v[64:65], v[206:207], -v[184:185]
	v_fma_f64 v[54:55], v[62:63], v[38:39], -v[36:37]
	scratch_load_b128 v[38:41], off, off offset:2712 th:TH_LOAD_LU ; 16-byte Folded Reload
	s_wait_loadcnt_dscnt 0x1
	v_mul_f64_e32 v[36:37], v[40:41], v[34:35]
	s_delay_alu instid0(VALU_DEP_1) | instskip(SKIP_2) | instid1(VALU_DEP_2)
	v_fma_f64 v[62:63], v[38:39], v[32:33], v[36:37]
	v_mul_f64_e32 v[32:33], v[40:41], v[32:33]
	v_add_f64_e32 v[40:41], v[184:185], v[206:207]
	v_fma_f64 v[214:215], v[38:39], v[34:35], -v[32:33]
	scratch_load_b128 v[34:37], off, off offset:2728 th:TH_LOAD_LU ; 16-byte Folded Reload
	v_add_f64_e32 v[38:39], v[190:191], v[186:187]
	global_wb scope:SCOPE_SE
	s_wait_loadcnt_dscnt 0x0
	s_barrier_signal -1
	s_barrier_wait -1
	global_inv scope:SCOPE_SE
	v_mul_f64_e32 v[32:33], v[36:37], v[30:31]
	s_delay_alu instid0(VALU_DEP_1) | instskip(SKIP_4) | instid1(VALU_DEP_4)
	v_fma_f64 v[224:225], v[34:35], v[28:29], v[32:33]
	v_mul_f64_e32 v[28:29], v[36:37], v[28:29]
	v_add_f64_e32 v[36:37], v[188:189], v[4:5]
	v_add_f64_e64 v[4:5], v[188:189], -v[4:5]
	v_add_f64_e64 v[32:33], v[192:193], -v[212:213]
	v_fma_f64 v[226:227], v[34:35], v[30:31], -v[28:29]
	v_add_f64_e32 v[28:29], v[198:199], v[0:1]
	v_add_f64_e32 v[30:31], v[192:193], v[212:213]
	;; [unrolled: 1-line block ×3, first 2 shown]
	v_add_f64_e64 v[0:1], v[198:199], -v[0:1]
	v_add_f64_e64 v[6:7], v[194:195], -v[6:7]
	;; [unrolled: 1-line block ×3, first 2 shown]
	v_add_f64_e32 v[78:79], v[64:65], v[4:5]
	v_add_f64_e64 v[4:5], v[4:5], -v[32:33]
	v_add_f64_e64 v[64:65], v[32:33], -v[64:65]
	v_add_f64_e32 v[68:69], v[36:37], v[30:31]
	v_add_f64_e32 v[66:67], v[34:35], v[28:29]
	v_add_f64_e64 v[70:71], v[34:35], -v[28:29]
	v_add_f64_e64 v[72:73], v[36:37], -v[30:31]
	v_add_f64_e64 v[28:29], v[28:29], -v[38:39]
	v_add_f64_e64 v[30:31], v[30:31], -v[40:41]
	v_add_f64_e64 v[34:35], v[38:39], -v[34:35]
	v_add_f64_e64 v[36:37], v[40:41], -v[36:37]
	v_add_f64_e32 v[74:75], v[42:43], v[6:7]
	v_add_f64_e64 v[116:117], v[42:43], -v[6:7]
	v_add_f64_e64 v[6:7], v[6:7], -v[0:1]
	;; [unrolled: 1-line block ×3, first 2 shown]
	v_add_f64_e32 v[32:33], v[78:79], v[32:33]
	v_mul_f64_e32 v[78:79], s[28:29], v[4:5]
	v_add_f64_e32 v[40:41], v[40:41], v[68:69]
	v_add_f64_e32 v[38:39], v[38:39], v[66:67]
	v_mul_f64_e32 v[68:69], s[26:27], v[118:119]
	v_add_f64_e32 v[0:1], v[74:75], v[0:1]
	v_mul_f64_e32 v[66:67], s[26:27], v[116:117]
	v_mul_f64_e32 v[74:75], s[28:29], v[6:7]
	v_add_f64_e32 v[158:159], v[26:27], v[40:41]
	v_add_f64_e32 v[156:157], v[24:25], v[38:39]
	v_mul_f64_e32 v[24:25], s[30:31], v[28:29]
	v_mul_f64_e32 v[26:27], s[30:31], v[30:31]
	;; [unrolled: 1-line block ×4, first 2 shown]
	v_fma_f64 v[4:5], v[4:5], s[10:11], -v[68:69]
	v_fma_f64 v[6:7], v[6:7], s[10:11], -v[66:67]
	v_fma_f64 v[40:41], v[40:41], s[24:25], v[158:159]
	v_fma_f64 v[38:39], v[38:39], s[24:25], v[156:157]
	;; [unrolled: 1-line block ×4, first 2 shown]
	v_fma_f64 v[28:29], v[70:71], s[18:19], -v[28:29]
	v_fma_f64 v[30:31], v[72:73], s[18:19], -v[30:31]
	;; [unrolled: 1-line block ×4, first 2 shown]
	v_fma_f64 v[70:71], v[42:43], s[22:23], v[66:67]
	v_fma_f64 v[42:43], v[42:43], s[16:17], v[74:75]
	;; [unrolled: 1-line block ×6, first 2 shown]
	v_add_f64_e32 v[66:67], v[34:35], v[38:39]
	v_add_f64_e32 v[36:37], v[36:37], v[40:41]
	;; [unrolled: 1-line block ×6, first 2 shown]
	v_fma_f64 v[68:69], v[0:1], s[8:9], v[70:71]
	v_fma_f64 v[0:1], v[0:1], s[8:9], v[42:43]
	;; [unrolled: 1-line block ×4, first 2 shown]
	v_add_f64_e32 v[64:65], v[160:161], v[174:175]
	v_add_f64_e64 v[192:193], v[28:29], -v[4:5]
	v_add_f64_e32 v[194:195], v[6:7], v[30:31]
	v_add_f64_e32 v[24:25], v[4:5], v[28:29]
	v_add_f64_e64 v[26:27], v[30:31], -v[6:7]
	v_add_f64_e64 v[190:191], v[36:37], -v[68:69]
	;; [unrolled: 1-line block ×3, first 2 shown]
	v_add_f64_e32 v[122:123], v[0:1], v[40:41]
	v_add_f64_e32 v[134:135], v[68:69], v[36:37]
	v_add_f64_e32 v[0:1], v[168:169], v[180:181]
	v_add_f64_e32 v[4:5], v[170:171], v[182:183]
	v_add_f64_e32 v[30:31], v[172:173], v[176:177]
	v_add_f64_e32 v[36:37], v[164:165], v[178:179]
	v_add_f64_e32 v[188:189], v[70:71], v[66:67]
	v_add_f64_e32 v[32:33], v[42:43], v[38:39]
	v_add_f64_e64 v[120:121], v[38:39], -v[42:43]
	v_add_f64_e64 v[132:133], v[66:67], -v[70:71]
	;; [unrolled: 1-line block ×6, first 2 shown]
	v_add_f64_e32 v[42:43], v[166:167], v[162:163]
	v_add_f64_e64 v[66:67], v[162:163], -v[166:167]
	v_add_f64_e64 v[68:69], v[174:175], -v[160:161]
	v_add_f64_e32 v[70:71], v[30:31], v[0:1]
	v_add_f64_e32 v[72:73], v[36:37], v[4:5]
	v_add_f64_e64 v[74:75], v[30:31], -v[0:1]
	v_add_f64_e64 v[78:79], v[36:37], -v[4:5]
	;; [unrolled: 1-line block ×6, first 2 shown]
	v_add_f64_e32 v[116:117], v[66:67], v[38:39]
	v_add_f64_e32 v[118:119], v[68:69], v[40:41]
	v_add_f64_e64 v[164:165], v[66:67], -v[38:39]
	v_add_f64_e64 v[166:167], v[68:69], -v[40:41]
	;; [unrolled: 1-line block ×6, first 2 shown]
	v_add_f64_e32 v[42:43], v[42:43], v[70:71]
	v_add_f64_e32 v[64:65], v[64:65], v[72:73]
	v_mul_f64_e32 v[4:5], s[30:31], v[4:5]
	v_mul_f64_e32 v[0:1], s[30:31], v[0:1]
	v_add_f64_e32 v[6:7], v[116:117], v[6:7]
	v_add_f64_e32 v[28:29], v[118:119], v[28:29]
	v_mul_f64_e32 v[70:71], s[26:27], v[164:165]
	v_mul_f64_e32 v[72:73], s[26:27], v[166:167]
	;; [unrolled: 1-line block ×4, first 2 shown]
	v_add_f64_e32 v[160:161], v[20:21], v[42:43]
	v_add_f64_e32 v[162:163], v[22:23], v[64:65]
	v_mul_f64_e32 v[20:21], s[14:15], v[30:31]
	v_mul_f64_e32 v[22:23], s[14:15], v[36:37]
	v_fma_f64 v[36:37], v[36:37], s[14:15], v[4:5]
	v_fma_f64 v[4:5], v[78:79], s[20:21], -v[4:5]
	v_fma_f64 v[30:31], v[30:31], s[14:15], v[0:1]
	v_fma_f64 v[0:1], v[74:75], s[20:21], -v[0:1]
	v_fma_f64 v[38:39], v[38:39], s[10:11], -v[70:71]
	v_fma_f64 v[40:41], v[40:41], s[10:11], -v[72:73]
	v_fma_f64 v[42:43], v[42:43], s[24:25], v[160:161]
	v_fma_f64 v[64:65], v[64:65], s[24:25], v[162:163]
	v_fma_f64 v[20:21], v[74:75], s[18:19], -v[20:21]
	v_fma_f64 v[22:23], v[78:79], s[18:19], -v[22:23]
	v_fma_f64 v[74:75], v[66:67], s[22:23], v[70:71]
	v_fma_f64 v[78:79], v[68:69], s[22:23], v[72:73]
	;; [unrolled: 1-line block ×6, first 2 shown]
	v_add_f64_e32 v[30:31], v[30:31], v[42:43]
	v_add_f64_e32 v[36:37], v[36:37], v[64:65]
	;; [unrolled: 1-line block ×6, first 2 shown]
	v_fma_f64 v[42:43], v[6:7], s[8:9], v[74:75]
	v_fma_f64 v[64:65], v[28:29], s[8:9], v[78:79]
	;; [unrolled: 1-line block ×4, first 2 shown]
	v_add_f64_e64 v[176:177], v[20:21], -v[40:41]
	v_add_f64_e32 v[178:179], v[38:39], v[22:23]
	v_add_f64_e64 v[174:175], v[22:23], -v[38:39]
	v_add_f64_e32 v[22:23], v[146:147], v[2:3]
	;; [unrolled: 2-line block ×5, first 2 shown]
	v_add_f64_e32 v[0:1], v[148:149], v[130:131]
	v_add_f64_e32 v[4:5], v[144:145], v[124:125]
	;; [unrolled: 1-line block ×4, first 2 shown]
	v_add_f64_e64 v[164:165], v[30:31], -v[64:65]
	v_add_f64_e32 v[166:167], v[42:43], v[36:37]
	v_add_f64_e64 v[20:21], v[144:145], -v[124:125]
	v_add_f64_e64 v[2:3], v[146:147], -v[2:3]
	;; [unrolled: 1-line block ×3, first 2 shown]
	v_add_f64_e32 v[36:37], v[152:153], v[138:139]
	v_add_f64_e32 v[38:39], v[136:137], v[154:155]
	v_add_f64_e64 v[40:41], v[138:139], -v[152:153]
	v_add_f64_e64 v[42:43], v[154:155], -v[136:137]
	;; [unrolled: 1-line block ×3, first 2 shown]
	v_add_f64_e32 v[64:65], v[22:23], v[0:1]
	v_add_f64_e64 v[68:69], v[22:23], -v[0:1]
	v_add_f64_e32 v[66:67], v[28:29], v[4:5]
	v_add_f64_e64 v[70:71], v[28:29], -v[4:5]
	v_add_f64_e64 v[0:1], v[0:1], -v[36:37]
	;; [unrolled: 1-line block ×5, first 2 shown]
	v_add_f64_e32 v[74:75], v[42:43], v[30:31]
	v_add_f64_e64 v[78:79], v[40:41], -v[2:3]
	v_add_f64_e64 v[124:125], v[42:43], -v[30:31]
	;; [unrolled: 1-line block ×3, first 2 shown]
	v_add_f64_e32 v[72:73], v[40:41], v[2:3]
	v_add_f64_e64 v[42:43], v[20:21], -v[42:43]
	v_add_f64_e64 v[2:3], v[2:3], -v[6:7]
	;; [unrolled: 1-line block ×3, first 2 shown]
	v_add_f64_e32 v[36:37], v[36:37], v[64:65]
	v_add_f64_e32 v[38:39], v[38:39], v[66:67]
	v_mul_f64_e32 v[0:1], s[30:31], v[0:1]
	v_mul_f64_e32 v[4:5], s[30:31], v[4:5]
	v_add_f64_e32 v[20:21], v[74:75], v[20:21]
	v_mul_f64_e32 v[64:65], s[26:27], v[78:79]
	v_mul_f64_e32 v[66:67], s[26:27], v[124:125]
	;; [unrolled: 1-line block ×3, first 2 shown]
	v_add_f64_e32 v[6:7], v[72:73], v[6:7]
	v_mul_f64_e32 v[72:73], s[28:29], v[2:3]
	v_add_f64_e32 v[116:117], v[16:17], v[36:37]
	v_mul_f64_e32 v[16:17], s[14:15], v[22:23]
	;; [unrolled: 2-line block ×3, first 2 shown]
	v_fma_f64 v[22:23], v[22:23], s[14:15], v[0:1]
	v_fma_f64 v[28:29], v[28:29], s[14:15], v[4:5]
	v_fma_f64 v[0:1], v[68:69], s[20:21], -v[0:1]
	v_fma_f64 v[4:5], v[70:71], s[20:21], -v[4:5]
	;; [unrolled: 1-line block ×4, first 2 shown]
	v_fma_f64 v[36:37], v[36:37], s[24:25], v[116:117]
	v_fma_f64 v[16:17], v[68:69], s[18:19], -v[16:17]
	v_fma_f64 v[38:39], v[38:39], s[24:25], v[118:119]
	v_fma_f64 v[18:19], v[70:71], s[18:19], -v[18:19]
	v_fma_f64 v[70:71], v[42:43], s[22:23], v[66:67]
	v_fma_f64 v[42:43], v[42:43], s[16:17], v[74:75]
	;; [unrolled: 1-line block ×6, first 2 shown]
	v_add_f64_e32 v[0:1], v[0:1], v[36:37]
	v_add_f64_e32 v[16:17], v[16:17], v[36:37]
	v_add_f64_e32 v[28:29], v[28:29], v[38:39]
	v_add_f64_e32 v[18:19], v[18:19], v[38:39]
	v_add_f64_e32 v[4:5], v[4:5], v[38:39]
	v_fma_f64 v[38:39], v[20:21], s[8:9], v[70:71]
	v_fma_f64 v[20:21], v[20:21], s[8:9], v[42:43]
	v_add_f64_e32 v[22:23], v[22:23], v[36:37]
	v_fma_f64 v[36:37], v[6:7], s[8:9], v[68:69]
	v_fma_f64 v[6:7], v[6:7], s[8:9], v[40:41]
	v_add_f64_e64 v[144:145], v[16:17], -v[30:31]
	v_add_f64_e32 v[136:137], v[30:31], v[16:17]
	v_add_f64_e32 v[146:147], v[2:3], v[18:19]
	v_add_f64_e64 v[138:139], v[18:19], -v[2:3]
	v_add_f64_e32 v[2:3], v[204:205], v[232:233]
	v_add_f64_e32 v[148:149], v[20:21], v[0:1]
	;; [unrolled: 3-line block ×3, first 2 shown]
	v_add_f64_e32 v[18:19], v[142:143], v[104:105]
	v_add_f64_e32 v[152:153], v[38:39], v[22:23]
	v_add_f64_e64 v[154:155], v[28:29], -v[36:37]
	v_add_f64_e64 v[150:151], v[4:5], -v[6:7]
	v_add_f64_e32 v[130:131], v[6:7], v[4:5]
	v_add_f64_e64 v[40:41], v[22:23], -v[38:39]
	v_add_f64_e32 v[42:43], v[36:37], v[28:29]
	v_add_f64_e64 v[4:5], v[126:127], -v[106:107]
	v_add_f64_e64 v[6:7], v[204:205], -v[232:233]
	v_add_f64_e64 v[10:11], v[10:11], -v[110:111]
	v_add_f64_e64 v[20:21], v[142:143], -v[104:105]
	v_add_f64_e32 v[22:23], v[8:9], v[114:115]
	v_add_f64_e32 v[28:29], v[112:113], v[108:109]
	v_add_f64_e64 v[8:9], v[114:115], -v[8:9]
	v_add_f64_e64 v[30:31], v[108:109], -v[112:113]
	v_add_f64_e32 v[36:37], v[16:17], v[0:1]
	v_add_f64_e32 v[38:39], v[18:19], v[2:3]
	v_add_f64_e64 v[64:65], v[16:17], -v[0:1]
	v_add_f64_e64 v[66:67], v[18:19], -v[2:3]
	v_add_f64_e64 v[0:1], v[0:1], -v[22:23]
	v_add_f64_e64 v[2:3], v[2:3], -v[28:29]
	v_add_f64_e64 v[16:17], v[22:23], -v[16:17]
	v_add_f64_e64 v[18:19], v[28:29], -v[18:19]
	v_add_f64_e32 v[68:69], v[8:9], v[10:11]
	v_add_f64_e32 v[70:71], v[30:31], v[20:21]
	v_add_f64_e64 v[72:73], v[8:9], -v[10:11]
	v_add_f64_e64 v[74:75], v[30:31], -v[20:21]
	;; [unrolled: 1-line block ×6, first 2 shown]
	v_add_f64_e32 v[22:23], v[22:23], v[36:37]
	v_add_f64_e32 v[28:29], v[28:29], v[38:39]
	v_mul_f64_e32 v[0:1], s[30:31], v[0:1]
	v_mul_f64_e32 v[2:3], s[30:31], v[2:3]
	v_add_f64_e32 v[36:37], v[68:69], v[4:5]
	v_add_f64_e32 v[38:39], v[70:71], v[6:7]
	v_mul_f64_e32 v[68:69], s[26:27], v[72:73]
	v_mul_f64_e32 v[70:71], s[26:27], v[74:75]
	;; [unrolled: 1-line block ×4, first 2 shown]
	v_add_f64_e32 v[4:5], v[12:13], v[22:23]
	v_add_f64_e32 v[6:7], v[14:15], v[28:29]
	v_mul_f64_e32 v[12:13], s[14:15], v[16:17]
	v_mul_f64_e32 v[14:15], s[14:15], v[18:19]
	v_fma_f64 v[16:17], v[16:17], s[14:15], v[0:1]
	v_fma_f64 v[18:19], v[18:19], s[14:15], v[2:3]
	v_fma_f64 v[0:1], v[64:65], s[20:21], -v[0:1]
	v_fma_f64 v[2:3], v[66:67], s[20:21], -v[2:3]
	;; [unrolled: 1-line block ×4, first 2 shown]
	v_fma_f64 v[22:23], v[22:23], s[24:25], v[4:5]
	v_fma_f64 v[28:29], v[28:29], s[24:25], v[6:7]
	v_fma_f64 v[12:13], v[64:65], s[18:19], -v[12:13]
	v_fma_f64 v[14:15], v[66:67], s[18:19], -v[14:15]
	v_fma_f64 v[64:65], v[8:9], s[22:23], v[68:69]
	v_fma_f64 v[66:67], v[30:31], s[22:23], v[70:71]
	v_fma_f64 v[8:9], v[8:9], s[16:17], v[72:73]
	v_fma_f64 v[30:31], v[30:31], s[16:17], v[74:75]
	v_fma_f64 v[10:11], v[36:37], s[8:9], v[10:11]
	v_add_f64_e32 v[68:69], v[16:17], v[22:23]
	v_add_f64_e32 v[0:1], v[0:1], v[22:23]
	;; [unrolled: 1-line block ×5, first 2 shown]
	v_fma_f64 v[16:17], v[38:39], s[8:9], v[20:21]
	v_fma_f64 v[8:9], v[36:37], s[8:9], v[8:9]
	v_fma_f64 v[20:21], v[38:39], s[8:9], v[30:31]
	v_add_f64_e32 v[70:71], v[18:19], v[28:29]
	v_fma_f64 v[28:29], v[36:37], s[8:9], v[64:65]
	v_fma_f64 v[64:65], v[38:39], s[8:9], v[66:67]
	v_add_f64_e64 v[30:31], v[92:93], -v[80:81]
	v_add_f64_e32 v[66:67], v[88:89], v[84:85]
	v_add_f64_e32 v[106:107], v[10:11], v[14:15]
	v_add_f64_e64 v[18:19], v[14:15], -v[10:11]
	v_add_f64_e64 v[104:105], v[12:13], -v[16:17]
	;; [unrolled: 1-line block ×3, first 2 shown]
	v_add_f64_e32 v[108:109], v[20:21], v[0:1]
	v_add_f64_e32 v[16:17], v[16:17], v[12:13]
	v_add_f64_e64 v[20:21], v[0:1], -v[20:21]
	v_add_f64_e32 v[22:23], v[8:9], v[2:3]
	v_add_f64_e32 v[0:1], v[100:101], v[82:83]
	v_add_f64_e32 v[2:3], v[140:141], v[76:77]
	v_add_f64_e32 v[12:13], v[96:97], v[94:95]
	v_add_f64_e32 v[14:15], v[92:93], v[80:81]
	v_add_f64_e32 v[112:113], v[64:65], v[68:69]
	v_add_f64_e64 v[114:115], v[70:71], -v[28:29]
	v_add_f64_e64 v[36:37], v[68:69], -v[64:65]
	v_add_f64_e32 v[38:39], v[28:29], v[70:71]
	v_add_f64_e64 v[8:9], v[100:101], -v[82:83]
	v_add_f64_e64 v[10:11], v[140:141], -v[76:77]
	;; [unrolled: 1-line block ×3, first 2 shown]
	v_add_f64_e32 v[64:65], v[102:103], v[98:99]
	v_add_f64_e64 v[68:69], v[98:99], -v[102:103]
	v_add_f64_e64 v[70:71], v[84:85], -v[88:89]
	v_add_f64_e32 v[72:73], v[12:13], v[0:1]
	v_add_f64_e32 v[74:75], v[14:15], v[2:3]
	v_add_f64_e64 v[76:77], v[12:13], -v[0:1]
	v_add_f64_e64 v[78:79], v[14:15], -v[2:3]
	;; [unrolled: 1-line block ×6, first 2 shown]
	v_add_f64_e32 v[12:13], v[68:69], v[28:29]
	v_add_f64_e32 v[14:15], v[70:71], v[30:31]
	v_add_f64_e64 v[84:85], v[68:69], -v[28:29]
	v_add_f64_e64 v[88:89], v[70:71], -v[30:31]
	v_add_f64_e64 v[28:29], v[28:29], -v[8:9]
	v_add_f64_e64 v[30:31], v[30:31], -v[10:11]
	v_add_f64_e64 v[68:69], v[8:9], -v[68:69]
	v_add_f64_e64 v[70:71], v[10:11], -v[70:71]
	v_add_f64_e32 v[64:65], v[64:65], v[72:73]
	v_add_f64_e32 v[66:67], v[66:67], v[74:75]
	v_mul_f64_e32 v[2:3], s[30:31], v[2:3]
	v_mul_f64_e32 v[74:75], s[14:15], v[82:83]
	;; [unrolled: 1-line block ×4, first 2 shown]
	v_add_f64_e32 v[8:9], v[12:13], v[8:9]
	v_add_f64_e32 v[10:11], v[14:15], v[10:11]
	v_mul_f64_e32 v[84:85], s[26:27], v[84:85]
	v_mul_f64_e32 v[88:89], s[26:27], v[88:89]
	;; [unrolled: 1-line block ×4, first 2 shown]
	v_add_f64_e32 v[12:13], v[208:209], v[64:65]
	v_add_f64_e32 v[14:15], v[210:211], v[66:67]
	v_fma_f64 v[82:83], v[82:83], s[14:15], v[2:3]
	v_fma_f64 v[74:75], v[78:79], s[18:19], -v[74:75]
	v_fma_f64 v[2:3], v[78:79], s[20:21], -v[2:3]
	v_fma_f64 v[80:81], v[80:81], s[14:15], v[0:1]
	v_fma_f64 v[72:73], v[76:77], s[18:19], -v[72:73]
	v_fma_f64 v[0:1], v[76:77], s[20:21], -v[0:1]
	v_fma_f64 v[76:77], v[68:69], s[22:23], v[84:85]
	v_fma_f64 v[78:79], v[70:71], s[22:23], v[88:89]
	v_fma_f64 v[28:29], v[28:29], s[10:11], -v[84:85]
	v_fma_f64 v[30:31], v[30:31], s[10:11], -v[88:89]
	v_fma_f64 v[68:69], v[68:69], s[16:17], v[92:93]
	v_fma_f64 v[70:71], v[70:71], s[16:17], v[94:95]
	;; [unrolled: 1-line block ×10, first 2 shown]
	v_add_f64_e32 v[92:93], v[72:73], v[64:65]
	v_add_f64_e32 v[94:95], v[74:75], v[66:67]
	;; [unrolled: 1-line block ×6, first 2 shown]
	v_add_f64_e64 v[72:73], v[92:93], -v[30:31]
	v_add_f64_e32 v[74:75], v[28:29], v[94:95]
	v_add_f64_e32 v[76:77], v[10:11], v[0:1]
	v_add_f64_e64 v[78:79], v[2:3], -v[8:9]
	v_add_f64_e32 v[68:69], v[30:31], v[92:93]
	v_add_f64_e64 v[70:71], v[94:95], -v[28:29]
	v_add_f64_e64 v[64:65], v[0:1], -v[10:11]
	v_add_f64_e32 v[66:67], v[8:9], v[2:3]
	v_add_f64_e32 v[0:1], v[90:91], v[56:57]
	;; [unrolled: 1-line block ×6, first 2 shown]
	v_add_f64_e64 v[82:83], v[88:89], -v[96:97]
	v_add_f64_e64 v[208:209], v[84:85], -v[98:99]
	v_add_f64_e32 v[210:211], v[96:97], v[88:89]
	v_add_f64_e64 v[8:9], v[90:91], -v[56:57]
	v_add_f64_e64 v[10:11], v[234:235], -v[52:53]
	;; [unrolled: 1-line block ×4, first 2 shown]
	v_add_f64_e32 v[84:85], v[244:245], v[248:249]
	v_add_f64_e32 v[88:89], v[246:247], v[250:251]
	v_add_f64_e64 v[90:91], v[248:249], -v[244:245]
	v_add_f64_e64 v[92:93], v[250:251], -v[246:247]
	v_add_f64_e32 v[94:95], v[28:29], v[0:1]
	v_add_f64_e32 v[96:97], v[30:31], v[2:3]
	v_add_f64_e64 v[98:99], v[28:29], -v[0:1]
	v_add_f64_e64 v[100:101], v[30:31], -v[2:3]
	;; [unrolled: 1-line block ×6, first 2 shown]
	v_add_f64_e32 v[28:29], v[90:91], v[52:53]
	v_add_f64_e32 v[30:31], v[92:93], v[56:57]
	v_add_f64_e64 v[126:127], v[90:91], -v[52:53]
	v_add_f64_e64 v[52:53], v[52:53], -v[8:9]
	;; [unrolled: 1-line block ×6, first 2 shown]
	v_add_f64_e32 v[84:85], v[84:85], v[94:95]
	v_add_f64_e32 v[88:89], v[88:89], v[96:97]
	v_mul_f64_e32 v[0:1], s[30:31], v[0:1]
	v_mul_f64_e32 v[2:3], s[30:31], v[2:3]
	;; [unrolled: 1-line block ×4, first 2 shown]
	v_add_f64_e32 v[8:9], v[28:29], v[8:9]
	v_add_f64_e32 v[10:11], v[30:31], v[10:11]
	v_mul_f64_e32 v[126:127], s[26:27], v[126:127]
	v_mul_f64_e32 v[142:143], s[28:29], v[52:53]
	;; [unrolled: 1-line block ×4, first 2 shown]
	v_add_f64_e32 v[28:29], v[200:201], v[84:85]
	v_add_f64_e32 v[30:31], v[202:203], v[88:89]
	v_fma_f64 v[102:103], v[102:103], s[14:15], v[0:1]
	v_fma_f64 v[124:125], v[124:125], s[14:15], v[2:3]
	v_fma_f64 v[94:95], v[98:99], s[18:19], -v[94:95]
	v_fma_f64 v[96:97], v[100:101], s[18:19], -v[96:97]
	v_fma_f64 v[0:1], v[98:99], s[20:21], -v[0:1]
	v_fma_f64 v[2:3], v[100:101], s[20:21], -v[2:3]
	v_fma_f64 v[98:99], v[90:91], s[22:23], v[126:127]
	v_fma_f64 v[52:53], v[52:53], s[10:11], -v[126:127]
	v_fma_f64 v[90:91], v[90:91], s[16:17], v[142:143]
	v_fma_f64 v[100:101], v[92:93], s[22:23], v[140:141]
	v_fma_f64 v[56:57], v[56:57], s[10:11], -v[140:141]
	v_fma_f64 v[92:93], v[92:93], s[16:17], v[198:199]
	v_fma_f64 v[84:85], v[84:85], s[24:25], v[28:29]
	;; [unrolled: 1-line block ×5, first 2 shown]
	s_delay_alu instid0(VALU_DEP_4)
	v_add_f64_e32 v[102:103], v[102:103], v[84:85]
	v_add_f64_e32 v[94:95], v[94:95], v[84:85]
	;; [unrolled: 1-line block ×5, first 2 shown]
	v_fma_f64 v[84:85], v[8:9], s[8:9], v[98:99]
	v_fma_f64 v[8:9], v[8:9], s[8:9], v[90:91]
	;; [unrolled: 1-line block ×4, first 2 shown]
	v_add_f64_e32 v[140:141], v[124:125], v[88:89]
	v_add_f64_e64 v[200:201], v[94:95], -v[56:57]
	v_add_f64_e32 v[202:203], v[52:53], v[96:97]
	v_add_f64_e64 v[126:127], v[96:97], -v[52:53]
	v_add_f64_e32 v[52:53], v[44:45], v[214:215]
	v_add_f64_e32 v[124:125], v[56:57], v[94:95]
	v_add_f64_e64 v[234:235], v[2:3], -v[8:9]
	v_add_f64_e32 v[90:91], v[8:9], v[2:3]
	v_add_f64_e32 v[2:3], v[50:51], v[226:227]
	v_add_f64_e32 v[232:233], v[10:11], v[0:1]
	v_add_f64_e64 v[88:89], v[0:1], -v[10:11]
	v_add_f64_e32 v[0:1], v[58:59], v[224:225]
	v_add_f64_e64 v[8:9], v[58:59], -v[224:225]
	v_add_f64_e64 v[10:11], v[50:51], -v[226:227]
	v_add_f64_e32 v[50:51], v[48:49], v[62:63]
	v_add_f64_e64 v[48:49], v[48:49], -v[62:63]
	v_add_f64_e64 v[44:45], v[44:45], -v[214:215]
	v_add_f64_e32 v[56:57], v[46:47], v[60:61]
	v_add_f64_e32 v[58:59], v[86:87], v[54:55]
	v_add_f64_e64 v[46:47], v[60:61], -v[46:47]
	v_add_f64_e64 v[54:55], v[54:55], -v[86:87]
	v_add_f64_e32 v[204:205], v[98:99], v[102:103]
	v_add_f64_e64 v[206:207], v[140:141], -v[84:85]
	v_add_f64_e64 v[100:101], v[102:103], -v[98:99]
	v_add_f64_e32 v[102:103], v[84:85], v[140:141]
	v_add_f64_e32 v[62:63], v[52:53], v[2:3]
	v_add_f64_e64 v[86:87], v[52:53], -v[2:3]
	v_add_f64_e32 v[60:61], v[50:51], v[0:1]
	v_add_f64_e64 v[84:85], v[50:51], -v[0:1]
	v_add_f64_e64 v[92:93], v[0:1], -v[56:57]
	;; [unrolled: 1-line block ×4, first 2 shown]
	v_add_f64_e32 v[2:3], v[54:55], v[44:45]
	v_add_f64_e64 v[96:97], v[46:47], -v[48:49]
	v_add_f64_e32 v[0:1], v[46:47], v[48:49]
	v_add_f64_e64 v[98:99], v[54:55], -v[44:45]
	v_add_f64_e64 v[54:55], v[10:11], -v[54:55]
	;; [unrolled: 1-line block ×6, first 2 shown]
	v_add_f64_e32 v[58:59], v[58:59], v[62:63]
	v_add_f64_e32 v[56:57], v[56:57], v[60:61]
	v_mul_f64_e32 v[60:61], s[30:31], v[92:93]
	v_mul_f64_e32 v[62:63], s[30:31], v[94:95]
	;; [unrolled: 1-line block ×3, first 2 shown]
	v_add_f64_e32 v[10:11], v[2:3], v[10:11]
	v_mul_f64_e32 v[96:97], s[26:27], v[96:97]
	v_add_f64_e32 v[8:9], v[0:1], v[8:9]
	v_mul_f64_e32 v[98:99], s[26:27], v[98:99]
	v_mul_f64_e32 v[140:141], s[28:29], v[48:49]
	;; [unrolled: 1-line block ×4, first 2 shown]
	v_add_f64_e32 v[2:3], v[218:219], v[58:59]
	v_add_f64_e32 v[0:1], v[216:217], v[56:57]
	v_fma_f64 v[50:51], v[50:51], s[14:15], v[60:61]
	v_fma_f64 v[52:53], v[52:53], s[14:15], v[62:63]
	v_fma_f64 v[94:95], v[86:87], s[18:19], -v[94:95]
	v_fma_f64 v[62:63], v[86:87], s[20:21], -v[62:63]
	v_fma_f64 v[48:49], v[48:49], s[10:11], -v[96:97]
	v_fma_f64 v[60:61], v[84:85], s[20:21], -v[60:61]
	v_fma_f64 v[86:87], v[54:55], s[22:23], v[98:99]
	v_fma_f64 v[44:45], v[44:45], s[10:11], -v[98:99]
	v_fma_f64 v[54:55], v[54:55], s[16:17], v[142:143]
	v_fma_f64 v[92:93], v[84:85], s[18:19], -v[92:93]
	v_fma_f64 v[84:85], v[46:47], s[22:23], v[96:97]
	v_fma_f64 v[46:47], v[46:47], s[16:17], v[140:141]
	;; [unrolled: 1-line block ×10, first 2 shown]
	v_add_f64_e32 v[212:213], v[94:95], v[58:59]
	v_add_f64_e32 v[52:53], v[52:53], v[58:59]
	;; [unrolled: 1-line block ×7, first 2 shown]
	v_add_f64_e64 v[58:59], v[212:213], -v[48:49]
	scratch_load_b32 v48, off, off offset:2764 th:TH_LOAD_LU ; 4-byte Folded Reload
	s_wait_loadcnt 0x0
	ds_store_b128 v48, v[156:159]
	ds_store_b128 v48, v[188:191] offset:112
	ds_store_b128 v48, v[32:35] offset:224
	ds_store_b128 v48, v[192:195] offset:336
	ds_store_b128 v48, v[24:27] offset:448
	ds_store_b128 v48, v[120:123] offset:560
	ds_store_b128 v48, v[132:135] offset:672
	scratch_load_b32 v24, off, off offset:2756 th:TH_LOAD_LU ; 4-byte Folded Reload
	s_wait_loadcnt 0x0
	ds_store_b128 v24, v[160:163]
	ds_store_b128 v24, v[184:187] offset:112
	ds_store_b128 v24, v[180:183] offset:224
	ds_store_b128 v24, v[176:179] offset:336
	ds_store_b128 v24, v[172:175] offset:448
	ds_store_b128 v24, v[168:171] offset:560
	ds_store_b128 v24, v[164:167] offset:672
	;; [unrolled: 9-line block ×6, first 2 shown]
	scratch_load_b32 v4, off, off offset:940 th:TH_LOAD_LU ; 4-byte Folded Reload
	v_add_f64_e32 v[140:141], v[86:87], v[50:51]
	v_add_f64_e64 v[142:143], v[52:53], -v[84:85]
	v_add_f64_e32 v[92:93], v[8:9], v[60:61]
	v_add_f64_e64 v[94:95], v[62:63], -v[46:47]
	v_add_f64_e64 v[96:97], v[198:199], -v[44:45]
	v_add_f64_e32 v[56:57], v[44:45], v[198:199]
	v_add_f64_e64 v[8:9], v[60:61], -v[8:9]
	v_add_f64_e32 v[10:11], v[46:47], v[62:63]
	;; [unrolled: 2-line block ×3, first 2 shown]
	s_wait_loadcnt 0x0
	ds_store_b128 v4, v[0:3]
	ds_store_b128 v4, v[140:143] offset:112
	ds_store_b128 v4, v[92:95] offset:224
	;; [unrolled: 1-line block ×6, first 2 shown]
	global_wb scope:SCOPE_SE
	s_wait_dscnt 0x0
	s_barrier_signal -1
	s_barrier_wait -1
	global_inv scope:SCOPE_SE
	ds_load_b128 v[0:3], v196
	ds_load_b128 v[192:195], v196 offset:5488
	ds_load_b128 v[188:191], v196 offset:10976
	;; [unrolled: 1-line block ×48, first 2 shown]
	s_wait_dscnt 0x2f
	v_mul_f64_e32 v[198:199], v[238:239], v[194:195]
	s_delay_alu instid0(VALU_DEP_1) | instskip(SKIP_1) | instid1(VALU_DEP_1)
	v_fma_f64 v[226:227], v[236:237], v[192:193], v[198:199]
	v_mul_f64_e32 v[192:193], v[238:239], v[192:193]
	v_fma_f64 v[232:233], v[236:237], v[194:195], -v[192:193]
	s_wait_dscnt 0x2e
	v_mul_f64_e32 v[192:193], v[222:223], v[190:191]
	s_delay_alu instid0(VALU_DEP_1) | instskip(SKIP_1) | instid1(VALU_DEP_1)
	v_fma_f64 v[234:235], v[220:221], v[188:189], v[192:193]
	v_mul_f64_e32 v[188:189], v[222:223], v[188:189]
	v_fma_f64 v[240:241], v[220:221], v[190:191], -v[188:189]
	scratch_load_b128 v[190:193], off, off offset:1296 th:TH_LOAD_LU ; 16-byte Folded Reload
	s_wait_loadcnt_dscnt 0x2d
	v_mul_f64_e32 v[188:189], v[192:193], v[186:187]
	s_delay_alu instid0(VALU_DEP_1) | instskip(SKIP_1) | instid1(VALU_DEP_1)
	v_fma_f64 v[242:243], v[190:191], v[184:185], v[188:189]
	v_mul_f64_e32 v[184:185], v[192:193], v[184:185]
	v_fma_f64 v[244:245], v[190:191], v[186:187], -v[184:185]
	scratch_load_b128 v[186:189], off, off offset:1328 th:TH_LOAD_LU ; 16-byte Folded Reload
	s_wait_loadcnt_dscnt 0x2c
	v_mul_f64_e32 v[184:185], v[188:189], v[182:183]
	v_dual_mov_b32 v201, v189 :: v_dual_mov_b32 v200, v188
	v_dual_mov_b32 v199, v187 :: v_dual_mov_b32 v198, v186
	s_delay_alu instid0(VALU_DEP_3) | instskip(SKIP_1) | instid1(VALU_DEP_1)
	v_fma_f64 v[246:247], v[186:187], v[180:181], v[184:185]
	v_mul_f64_e32 v[180:181], v[188:189], v[180:181]
	v_fma_f64 v[248:249], v[186:187], v[182:183], -v[180:181]
	s_wait_dscnt 0x2b
	v_mul_f64_e32 v[180:181], v[230:231], v[178:179]
	s_delay_alu instid0(VALU_DEP_1) | instskip(SKIP_1) | instid1(VALU_DEP_1)
	v_fma_f64 v[250:251], v[228:229], v[176:177], v[180:181]
	v_mul_f64_e32 v[176:177], v[230:231], v[176:177]
	v_fma_f64 v[252:253], v[228:229], v[178:179], -v[176:177]
	scratch_load_b128 v[178:181], off, off offset:1344 th:TH_LOAD_LU ; 16-byte Folded Reload
	s_wait_loadcnt_dscnt 0x2a
	v_mul_f64_e32 v[176:177], v[180:181], v[174:175]
	s_delay_alu instid0(VALU_DEP_1) | instskip(SKIP_1) | instid1(VALU_DEP_1)
	v_fma_f64 v[254:255], v[178:179], v[172:173], v[176:177]
	v_mul_f64_e32 v[172:173], v[180:181], v[172:173]
	v_fma_f64 v[218:219], v[178:179], v[174:175], -v[172:173]
	s_wait_dscnt 0x28
	v_mul_f64_e32 v[172:173], v[238:239], v[170:171]
	v_dual_mov_b32 v174, v178 :: v_dual_mov_b32 v175, v179
	v_dual_mov_b32 v176, v180 :: v_dual_mov_b32 v177, v181
	s_delay_alu instid0(VALU_DEP_3) | instskip(SKIP_1) | instid1(VALU_DEP_1)
	v_fma_f64 v[180:181], v[236:237], v[168:169], v[172:173]
	v_mul_f64_e32 v[168:169], v[238:239], v[168:169]
	v_fma_f64 v[182:183], v[236:237], v[170:171], -v[168:169]
	s_wait_dscnt 0x27
	v_mul_f64_e32 v[168:169], v[222:223], v[166:167]
	s_delay_alu instid0(VALU_DEP_1) | instskip(SKIP_1) | instid1(VALU_DEP_1)
	v_fma_f64 v[184:185], v[220:221], v[164:165], v[168:169]
	v_mul_f64_e32 v[164:165], v[222:223], v[164:165]
	v_fma_f64 v[186:187], v[220:221], v[166:167], -v[164:165]
	s_wait_dscnt 0x26
	v_mul_f64_e32 v[164:165], v[192:193], v[162:163]
	s_delay_alu instid0(VALU_DEP_1) | instskip(SKIP_1) | instid1(VALU_DEP_1)
	;; [unrolled: 6-line block ×5, first 2 shown]
	v_fma_f64 v[224:225], v[174:175], v[148:149], v[152:153]
	v_mul_f64_e32 v[148:149], v[176:177], v[148:149]
	v_fma_f64 v[216:217], v[174:175], v[150:151], -v[148:149]
	scratch_load_b128 v[150:153], off, off offset:908 th:TH_LOAD_LU ; 16-byte Folded Reload
	s_wait_loadcnt_dscnt 0x21
	v_mul_f64_e32 v[148:149], v[152:153], v[146:147]
	s_delay_alu instid0(VALU_DEP_1) | instskip(SKIP_1) | instid1(VALU_DEP_1)
	v_fma_f64 v[168:169], v[150:151], v[144:145], v[148:149]
	v_mul_f64_e32 v[144:145], v[152:153], v[144:145]
	v_fma_f64 v[170:171], v[150:151], v[146:147], -v[144:145]
	scratch_load_b128 v[146:149], off, off offset:972 th:TH_LOAD_LU ; 16-byte Folded Reload
	s_wait_loadcnt_dscnt 0x20
	v_mul_f64_e32 v[144:145], v[148:149], v[142:143]
	s_delay_alu instid0(VALU_DEP_1) | instskip(SKIP_1) | instid1(VALU_DEP_1)
	v_fma_f64 v[160:161], v[146:147], v[140:141], v[144:145]
	v_mul_f64_e32 v[140:141], v[148:149], v[140:141]
	v_fma_f64 v[162:163], v[146:147], v[142:143], -v[140:141]
	scratch_load_b128 v[142:145], off, off offset:1004 th:TH_LOAD_LU ; 16-byte Folded Reload
	s_wait_loadcnt_dscnt 0x1f
	v_mul_f64_e32 v[140:141], v[144:145], v[138:139]
	s_delay_alu instid0(VALU_DEP_1)
	v_fma_f64 v[140:141], v[142:143], v[136:137], v[140:141]
	v_mul_f64_e32 v[136:137], v[144:145], v[136:137]
	scratch_load_b128 v[144:147], off, off offset:1036 th:TH_LOAD_LU ; 16-byte Folded Reload
	v_fma_f64 v[142:143], v[142:143], v[138:139], -v[136:137]
	s_wait_loadcnt_dscnt 0x1e
	v_mul_f64_e32 v[136:137], v[146:147], v[134:135]
	s_delay_alu instid0(VALU_DEP_1) | instskip(SKIP_1) | instid1(VALU_DEP_1)
	v_fma_f64 v[164:165], v[144:145], v[132:133], v[136:137]
	v_mul_f64_e32 v[132:133], v[146:147], v[132:133]
	v_fma_f64 v[166:167], v[144:145], v[134:135], -v[132:133]
	scratch_load_b128 v[134:137], off, off offset:1052 th:TH_LOAD_LU ; 16-byte Folded Reload
	s_wait_loadcnt_dscnt 0x1d
	v_mul_f64_e32 v[132:133], v[136:137], v[130:131]
	s_delay_alu instid0(VALU_DEP_1) | instskip(SKIP_1) | instid1(VALU_DEP_1)
	v_fma_f64 v[172:173], v[134:135], v[128:129], v[132:133]
	v_mul_f64_e32 v[128:129], v[136:137], v[128:129]
	v_fma_f64 v[174:175], v[134:135], v[130:131], -v[128:129]
	scratch_load_b128 v[130:133], off, off offset:1100 th:TH_LOAD_LU ; 16-byte Folded Reload
	;; [unrolled: 7-line block ×9, first 2 shown]
	v_add_f64_e64 v[106:107], v[194:195], -v[190:191]
	s_wait_loadcnt_dscnt 0x13
	v_mul_f64_e32 v[100:101], v[104:105], v[98:99]
	s_delay_alu instid0(VALU_DEP_1) | instskip(SKIP_2) | instid1(VALU_DEP_2)
	v_fma_f64 v[112:113], v[102:103], v[96:97], v[100:101]
	v_mul_f64_e32 v[96:97], v[104:105], v[96:97]
	v_add_f64_e64 v[104:105], v[192:193], -v[188:189]
	v_fma_f64 v[114:115], v[102:103], v[98:99], -v[96:97]
	scratch_load_b128 v[98:101], off, off offset:1448 th:TH_LOAD_LU ; 16-byte Folded Reload
	v_add_f64_e32 v[102:103], v[190:191], v[194:195]
	s_wait_loadcnt_dscnt 0x12
	v_mul_f64_e32 v[96:97], v[100:101], v[94:95]
	s_delay_alu instid0(VALU_DEP_1) | instskip(SKIP_2) | instid1(VALU_DEP_2)
	v_fma_f64 v[116:117], v[98:99], v[92:93], v[96:97]
	v_mul_f64_e32 v[92:93], v[100:101], v[92:93]
	v_add_f64_e32 v[100:101], v[188:189], v[192:193]
	v_fma_f64 v[92:93], v[98:99], v[94:95], -v[92:93]
	scratch_load_b128 v[96:99], off, off offset:1464 th:TH_LOAD_LU ; 16-byte Folded Reload
	s_wait_loadcnt_dscnt 0x11
	v_mul_f64_e32 v[94:95], v[98:99], v[90:91]
	s_delay_alu instid0(VALU_DEP_1) | instskip(SKIP_1) | instid1(VALU_DEP_1)
	v_fma_f64 v[94:95], v[96:97], v[88:89], v[94:95]
	v_mul_f64_e32 v[88:89], v[98:99], v[88:89]
	v_fma_f64 v[118:119], v[96:97], v[90:91], -v[88:89]
	scratch_load_b128 v[96:99], off, off offset:1496 th:TH_LOAD_LU ; 16-byte Folded Reload
	s_wait_loadcnt_dscnt 0x10
	v_mul_f64_e32 v[88:89], v[98:99], v[86:87]
	s_delay_alu instid0(VALU_DEP_1) | instskip(SKIP_1) | instid1(VALU_DEP_1)
	v_fma_f64 v[120:121], v[96:97], v[84:85], v[88:89]
	v_mul_f64_e32 v[84:85], v[98:99], v[84:85]
	;; [unrolled: 7-line block ×4, first 2 shown]
	v_fma_f64 v[130:131], v[82:83], v[78:79], -v[76:77]
	scratch_load_b128 v[82:85], off, off offset:1756 th:TH_LOAD_LU ; 16-byte Folded Reload
	s_wait_loadcnt_dscnt 0xc
	v_mul_f64_e32 v[76:77], v[84:85], v[74:75]
	s_delay_alu instid0(VALU_DEP_1) | instskip(SKIP_2) | instid1(VALU_DEP_1)
	v_fma_f64 v[80:81], v[82:83], v[72:73], v[76:77]
	scratch_load_b128 v[76:79], off, off offset:1772 th:TH_LOAD_LU ; 16-byte Folded Reload
	v_mul_f64_e32 v[72:73], v[84:85], v[72:73]
	v_fma_f64 v[72:73], v[82:83], v[74:75], -v[72:73]
	s_wait_loadcnt_dscnt 0xb
	v_mul_f64_e32 v[74:75], v[78:79], v[70:71]
	s_delay_alu instid0(VALU_DEP_1) | instskip(SKIP_1) | instid1(VALU_DEP_1)
	v_fma_f64 v[74:75], v[76:77], v[68:69], v[74:75]
	v_mul_f64_e32 v[68:69], v[78:79], v[68:69]
	v_fma_f64 v[82:83], v[76:77], v[70:71], -v[68:69]
	scratch_load_b128 v[76:79], off, off offset:1788 th:TH_LOAD_LU ; 16-byte Folded Reload
	s_wait_loadcnt_dscnt 0xa
	v_mul_f64_e32 v[68:69], v[78:79], v[66:67]
	s_delay_alu instid0(VALU_DEP_1) | instskip(SKIP_2) | instid1(VALU_DEP_1)
	v_fma_f64 v[84:85], v[76:77], v[64:65], v[68:69]
	scratch_load_b128 v[68:71], off, off offset:1804 th:TH_LOAD_LU ; 16-byte Folded Reload
	v_mul_f64_e32 v[64:65], v[78:79], v[64:65]
	v_fma_f64 v[64:65], v[76:77], v[66:67], -v[64:65]
	s_wait_loadcnt_dscnt 0x9
	v_mul_f64_e32 v[66:67], v[70:71], v[62:63]
	s_delay_alu instid0(VALU_DEP_1) | instskip(SKIP_1) | instid1(VALU_DEP_1)
	v_fma_f64 v[66:67], v[68:69], v[60:61], v[66:67]
	v_mul_f64_e32 v[60:61], v[70:71], v[60:61]
	v_fma_f64 v[60:61], v[68:69], v[62:63], -v[60:61]
	scratch_load_b128 v[68:71], off, off offset:1820 th:TH_LOAD_LU ; 16-byte Folded Reload
	s_wait_loadcnt_dscnt 0x8
	v_mul_f64_e32 v[62:63], v[70:71], v[58:59]
	s_delay_alu instid0(VALU_DEP_1) | instskip(SKIP_1) | instid1(VALU_DEP_1)
	v_fma_f64 v[62:63], v[68:69], v[56:57], v[62:63]
	v_mul_f64_e32 v[56:57], v[70:71], v[56:57]
	v_fma_f64 v[86:87], v[68:69], v[58:59], -v[56:57]
	scratch_load_b128 v[68:71], off, off offset:1840 th:TH_LOAD_LU ; 16-byte Folded Reload
	;; [unrolled: 7-line block ×3, first 2 shown]
	s_wait_loadcnt_dscnt 0x5
	v_mul_f64_e32 v[52:53], v[56:57], v[42:43]
	s_delay_alu instid0(VALU_DEP_1)
	v_fma_f64 v[52:53], v[54:55], v[40:41], v[52:53]
	v_mul_f64_e32 v[40:41], v[56:57], v[40:41]
	scratch_load_b128 v[56:59], off, off offset:2068 th:TH_LOAD_LU ; 16-byte Folded Reload
	v_fma_f64 v[54:55], v[54:55], v[42:43], -v[40:41]
	s_wait_loadcnt_dscnt 0x4
	v_mul_f64_e32 v[40:41], v[58:59], v[34:35]
	s_delay_alu instid0(VALU_DEP_1) | instskip(SKIP_2) | instid1(VALU_DEP_1)
	v_fma_f64 v[228:229], v[56:57], v[32:33], v[40:41]
	scratch_load_b128 v[40:43], off, off offset:2084 th:TH_LOAD_LU ; 16-byte Folded Reload
	v_mul_f64_e32 v[32:33], v[58:59], v[32:33]
	v_fma_f64 v[198:199], v[56:57], v[34:35], -v[32:33]
	v_add_f64_e32 v[34:35], v[244:245], v[248:249]
	s_wait_loadcnt_dscnt 0x3
	v_mul_f64_e32 v[32:33], v[42:43], v[30:31]
	s_delay_alu instid0(VALU_DEP_1) | instskip(SKIP_2) | instid1(VALU_DEP_2)
	v_fma_f64 v[200:201], v[40:41], v[28:29], v[32:33]
	v_mul_f64_e32 v[28:29], v[42:43], v[28:29]
	v_add_f64_e64 v[42:43], v[248:249], -v[244:245]
	v_fma_f64 v[202:203], v[40:41], v[30:31], -v[28:29]
	scratch_load_b128 v[30:33], off, off offset:2100 th:TH_LOAD_LU ; 16-byte Folded Reload
	v_add_f64_e64 v[40:41], v[246:247], -v[242:243]
	s_wait_loadcnt_dscnt 0x2
	v_mul_f64_e32 v[28:29], v[32:33], v[26:27]
	s_delay_alu instid0(VALU_DEP_1) | instskip(SKIP_2) | instid1(VALU_DEP_2)
	v_fma_f64 v[204:205], v[30:31], v[24:25], v[28:29]
	v_mul_f64_e32 v[24:25], v[32:33], v[24:25]
	v_add_f64_e32 v[32:33], v[242:243], v[246:247]
	v_fma_f64 v[206:207], v[30:31], v[26:27], -v[24:25]
	scratch_load_b128 v[26:29], off, off offset:2132 th:TH_LOAD_LU ; 16-byte Folded Reload
	v_add_f64_e64 v[30:31], v[240:241], -v[252:253]
	s_delay_alu instid0(VALU_DEP_1) | instskip(SKIP_3) | instid1(VALU_DEP_1)
	v_add_f64_e32 v[78:79], v[42:43], v[30:31]
	v_add_f64_e64 v[98:99], v[42:43], -v[30:31]
	s_wait_loadcnt_dscnt 0x1
	v_mul_f64_e32 v[24:25], v[28:29], v[18:19]
	v_fma_f64 v[208:209], v[26:27], v[16:17], v[24:25]
	v_mul_f64_e32 v[16:17], v[28:29], v[16:17]
	v_add_f64_e64 v[28:29], v[234:235], -v[250:251]
	s_delay_alu instid0(VALU_DEP_2)
	v_fma_f64 v[210:211], v[26:27], v[18:19], -v[16:17]
	scratch_load_b128 v[24:27], off, off offset:2164 th:TH_LOAD_LU ; 16-byte Folded Reload
	v_add_f64_e64 v[18:19], v[232:233], -v[218:219]
	v_add_f64_e32 v[76:77], v[40:41], v[28:29]
	v_add_f64_e64 v[96:97], v[40:41], -v[28:29]
	global_wb scope:SCOPE_SE
	s_wait_loadcnt_dscnt 0x0
	s_barrier_signal -1
	s_barrier_wait -1
	global_inv scope:SCOPE_SE
	v_add_f64_e64 v[30:31], v[30:31], -v[18:19]
	v_add_f64_e64 v[42:43], v[18:19], -v[42:43]
	v_add_f64_e32 v[18:19], v[78:79], v[18:19]
	v_mul_f64_e32 v[78:79], s[26:27], v[98:99]
	s_delay_alu instid0(VALU_DEP_4) | instskip(NEXT) | instid1(VALU_DEP_2)
	v_mul_f64_e32 v[98:99], s[28:29], v[30:31]
	v_fma_f64 v[30:31], v[30:31], s[10:11], -v[78:79]
	v_mul_f64_e32 v[16:17], v[26:27], v[14:15]
	s_delay_alu instid0(VALU_DEP_1) | instskip(SKIP_3) | instid1(VALU_DEP_3)
	v_fma_f64 v[212:213], v[24:25], v[12:13], v[16:17]
	v_mul_f64_e32 v[12:13], v[26:27], v[12:13]
	v_add_f64_e32 v[26:27], v[240:241], v[252:253]
	v_add_f64_e64 v[16:17], v[226:227], -v[254:255]
	v_fma_f64 v[214:215], v[24:25], v[14:15], -v[12:13]
	v_add_f64_e32 v[12:13], v[226:227], v[254:255]
	v_add_f64_e32 v[14:15], v[232:233], v[218:219]
	;; [unrolled: 1-line block ×3, first 2 shown]
	v_add_f64_e64 v[28:29], v[28:29], -v[16:17]
	v_add_f64_e64 v[40:41], v[16:17], -v[40:41]
	v_add_f64_e32 v[16:17], v[76:77], v[16:17]
	v_mul_f64_e32 v[76:77], s[26:27], v[96:97]
	v_add_f64_e32 v[58:59], v[26:27], v[14:15]
	v_add_f64_e32 v[56:57], v[24:25], v[12:13]
	v_add_f64_e64 v[68:69], v[24:25], -v[12:13]
	v_add_f64_e64 v[70:71], v[26:27], -v[14:15]
	;; [unrolled: 1-line block ×6, first 2 shown]
	v_mul_f64_e32 v[96:97], s[28:29], v[28:29]
	v_fma_f64 v[28:29], v[28:29], s[10:11], -v[76:77]
	v_add_f64_e32 v[34:35], v[34:35], v[58:59]
	v_add_f64_e32 v[32:33], v[32:33], v[56:57]
	v_mul_f64_e32 v[12:13], s[30:31], v[12:13]
	v_mul_f64_e32 v[14:15], s[30:31], v[14:15]
	;; [unrolled: 1-line block ×4, first 2 shown]
	v_add_f64_e32 v[2:3], v[2:3], v[34:35]
	v_add_f64_e32 v[0:1], v[0:1], v[32:33]
	v_fma_f64 v[24:25], v[24:25], s[14:15], v[12:13]
	v_fma_f64 v[26:27], v[26:27], s[14:15], v[14:15]
	v_fma_f64 v[56:57], v[68:69], s[18:19], -v[56:57]
	v_fma_f64 v[58:59], v[70:71], s[18:19], -v[58:59]
	;; [unrolled: 1-line block ×4, first 2 shown]
	v_fma_f64 v[68:69], v[40:41], s[22:23], v[76:77]
	v_fma_f64 v[70:71], v[42:43], s[22:23], v[78:79]
	;; [unrolled: 1-line block ×6, first 2 shown]
	v_add_f64_e64 v[98:99], v[186:187], -v[222:223]
	v_fma_f64 v[34:35], v[34:35], s[24:25], v[2:3]
	v_fma_f64 v[32:33], v[32:33], s[24:25], v[0:1]
	;; [unrolled: 1-line block ×6, first 2 shown]
	v_add_f64_e64 v[190:191], v[106:107], -v[98:99]
	v_add_f64_e32 v[78:79], v[26:27], v[34:35]
	v_add_f64_e32 v[76:77], v[24:25], v[32:33]
	;; [unrolled: 1-line block ×6, first 2 shown]
	v_add_f64_e64 v[18:19], v[78:79], -v[68:69]
	v_add_f64_e32 v[16:17], v[70:71], v[76:77]
	v_add_f64_e64 v[24:25], v[56:57], -v[28:29]
	v_add_f64_e32 v[26:27], v[96:97], v[58:59]
	v_add_f64_e32 v[12:13], v[42:43], v[32:33]
	v_add_f64_e64 v[14:15], v[34:35], -v[40:41]
	v_add_f64_e32 v[28:29], v[28:29], v[56:57]
	v_add_f64_e64 v[30:31], v[58:59], -v[96:97]
	v_add_f64_e64 v[32:33], v[32:33], -v[42:43]
	v_add_f64_e32 v[34:35], v[40:41], v[34:35]
	v_add_f64_e64 v[40:41], v[76:77], -v[70:71]
	v_add_f64_e32 v[42:43], v[68:69], v[78:79]
	v_add_f64_e32 v[56:57], v[180:181], v[224:225]
	;; [unrolled: 1-line block ×5, first 2 shown]
	v_add_f64_e64 v[68:69], v[180:181], -v[224:225]
	v_add_f64_e64 v[70:71], v[182:183], -v[216:217]
	;; [unrolled: 1-line block ×5, first 2 shown]
	v_add_f64_e32 v[108:109], v[76:77], v[56:57]
	v_add_f64_e32 v[110:111], v[78:79], v[58:59]
	v_add_f64_e64 v[180:181], v[76:77], -v[56:57]
	v_add_f64_e64 v[182:183], v[78:79], -v[58:59]
	;; [unrolled: 1-line block ×4, first 2 shown]
	v_add_f64_e32 v[56:57], v[104:105], v[96:97]
	v_add_f64_e32 v[58:59], v[106:107], v[98:99]
	v_add_f64_e64 v[188:189], v[104:105], -v[96:97]
	v_add_f64_e64 v[96:97], v[96:97], -v[68:69]
	;; [unrolled: 1-line block ×5, first 2 shown]
	v_add_f64_e32 v[100:101], v[100:101], v[108:109]
	v_add_f64_e32 v[102:103], v[102:103], v[110:111]
	v_mul_f64_e32 v[108:109], s[14:15], v[76:77]
	v_mul_f64_e32 v[110:111], s[14:15], v[78:79]
	v_add_f64_e32 v[68:69], v[56:57], v[68:69]
	v_add_f64_e32 v[70:71], v[58:59], v[70:71]
	;; [unrolled: 1-line block ×4, first 2 shown]
	v_mul_f64_e32 v[48:49], s[30:31], v[184:185]
	v_mul_f64_e32 v[50:51], s[30:31], v[186:187]
	;; [unrolled: 1-line block ×6, first 2 shown]
	v_fma_f64 v[108:109], v[180:181], s[18:19], -v[108:109]
	v_fma_f64 v[110:111], v[182:183], s[18:19], -v[110:111]
	v_fma_f64 v[100:101], v[100:101], s[24:25], v[56:57]
	v_fma_f64 v[102:103], v[102:103], s[24:25], v[58:59]
	;; [unrolled: 1-line block ×4, first 2 shown]
	v_fma_f64 v[48:49], v[180:181], s[20:21], -v[48:49]
	v_fma_f64 v[50:51], v[182:183], s[20:21], -v[50:51]
	v_fma_f64 v[180:181], v[104:105], s[22:23], v[184:185]
	v_fma_f64 v[182:183], v[106:107], s[22:23], v[186:187]
	v_fma_f64 v[104:105], v[104:105], s[16:17], v[188:189]
	v_fma_f64 v[106:107], v[106:107], s[16:17], v[190:191]
	v_fma_f64 v[96:97], v[96:97], s[10:11], -v[184:185]
	v_fma_f64 v[98:99], v[98:99], s[10:11], -v[186:187]
	v_add_f64_e32 v[108:109], v[108:109], v[100:101]
	v_add_f64_e32 v[110:111], v[110:111], v[102:103]
	;; [unrolled: 1-line block ×6, first 2 shown]
	v_fma_f64 v[180:181], v[68:69], s[8:9], v[180:181]
	v_fma_f64 v[182:183], v[70:71], s[8:9], v[182:183]
	;; [unrolled: 1-line block ×6, first 2 shown]
	v_add_f64_e64 v[78:79], v[186:187], -v[180:181]
	v_add_f64_e32 v[76:77], v[182:183], v[184:185]
	v_add_f64_e64 v[70:71], v[50:51], -v[188:189]
	v_add_f64_e32 v[68:69], v[104:105], v[48:49]
	;; [unrolled: 2-line block ×3, first 2 shown]
	v_add_f64_e32 v[48:49], v[168:169], v[176:177]
	v_add_f64_e32 v[50:51], v[170:171], v[178:179]
	v_add_f64_e64 v[168:169], v[168:169], -v[176:177]
	v_add_f64_e64 v[170:171], v[170:171], -v[178:179]
	v_add_f64_e32 v[176:177], v[160:161], v[172:173]
	v_add_f64_e32 v[178:179], v[162:163], v[174:175]
	v_add_f64_e64 v[160:161], v[160:161], -v[172:173]
	v_add_f64_e64 v[162:163], v[162:163], -v[174:175]
	;; [unrolled: 4-line block ×3, first 2 shown]
	v_add_f64_e64 v[96:97], v[108:109], -v[100:101]
	v_add_f64_e32 v[98:99], v[102:103], v[110:111]
	v_add_f64_e32 v[100:101], v[100:101], v[108:109]
	v_add_f64_e64 v[102:103], v[110:111], -v[102:103]
	v_add_f64_e64 v[108:109], v[184:185], -v[182:183]
	v_add_f64_e32 v[110:111], v[180:181], v[186:187]
	v_add_f64_e32 v[164:165], v[176:177], v[48:49]
	;; [unrolled: 1-line block ×3, first 2 shown]
	v_add_f64_e64 v[180:181], v[176:177], -v[48:49]
	v_add_f64_e64 v[182:183], v[178:179], -v[50:51]
	;; [unrolled: 1-line block ×8, first 2 shown]
	v_add_f64_e32 v[184:185], v[140:141], v[160:161]
	v_add_f64_e32 v[186:187], v[142:143], v[162:163]
	v_add_f64_e64 v[160:161], v[160:161], -v[168:169]
	v_add_f64_e64 v[162:163], v[162:163], -v[170:171]
	v_add_f64_e64 v[192:193], v[168:169], -v[140:141]
	v_add_f64_e64 v[194:195], v[170:171], -v[142:143]
	v_add_f64_e32 v[164:165], v[172:173], v[164:165]
	v_add_f64_e32 v[166:167], v[174:175], v[166:167]
	v_mul_f64_e32 v[172:173], s[26:27], v[188:189]
	v_mul_f64_e32 v[174:175], s[26:27], v[190:191]
	v_add_f64_e32 v[168:169], v[184:185], v[168:169]
	v_add_f64_e32 v[170:171], v[186:187], v[170:171]
	v_mul_f64_e32 v[184:185], s[28:29], v[160:161]
	v_mul_f64_e32 v[186:187], s[28:29], v[162:163]
	v_add_f64_e32 v[140:141], v[44:45], v[164:165]
	v_add_f64_e32 v[142:143], v[46:47], v[166:167]
	v_mul_f64_e32 v[44:45], s[30:31], v[48:49]
	v_mul_f64_e32 v[46:47], s[30:31], v[50:51]
	v_mul_f64_e32 v[48:49], s[14:15], v[176:177]
	v_mul_f64_e32 v[50:51], s[14:15], v[178:179]
	v_fma_f64 v[160:161], v[160:161], s[10:11], -v[172:173]
	v_fma_f64 v[162:163], v[162:163], s[10:11], -v[174:175]
	v_fma_f64 v[164:165], v[164:165], s[24:25], v[140:141]
	v_fma_f64 v[166:167], v[166:167], s[24:25], v[142:143]
	;; [unrolled: 1-line block ×4, first 2 shown]
	v_fma_f64 v[48:49], v[180:181], s[18:19], -v[48:49]
	v_fma_f64 v[50:51], v[182:183], s[18:19], -v[50:51]
	;; [unrolled: 1-line block ×4, first 2 shown]
	v_fma_f64 v[180:181], v[192:193], s[22:23], v[172:173]
	v_fma_f64 v[182:183], v[194:195], s[22:23], v[174:175]
	;; [unrolled: 1-line block ×6, first 2 shown]
	v_add_f64_e32 v[192:193], v[176:177], v[164:165]
	v_add_f64_e32 v[194:195], v[178:179], v[166:167]
	;; [unrolled: 1-line block ×6, first 2 shown]
	v_fma_f64 v[164:165], v[168:169], s[8:9], v[180:181]
	v_fma_f64 v[166:167], v[170:171], s[8:9], v[182:183]
	;; [unrolled: 1-line block ×4, first 2 shown]
	v_add_f64_e64 v[180:181], v[48:49], -v[162:163]
	v_add_f64_e32 v[182:183], v[160:161], v[50:51]
	v_add_f64_e32 v[184:185], v[162:163], v[48:49]
	v_add_f64_e64 v[186:187], v[50:51], -v[160:161]
	v_add_f64_e64 v[178:179], v[194:195], -v[164:165]
	v_add_f64_e32 v[176:177], v[166:167], v[192:193]
	v_add_f64_e64 v[174:175], v[46:47], -v[168:169]
	v_add_f64_e32 v[172:173], v[170:171], v[44:45]
	;; [unrolled: 2-line block ×4, first 2 shown]
	ds_store_b128 v196, v[0:3]
	ds_store_b128 v196, v[16:19] offset:784
	ds_store_b128 v196, v[12:15] offset:1568
	;; [unrolled: 1-line block ×20, first 2 shown]
	scratch_load_b32 v0, off, off offset:2508 th:TH_LOAD_LU ; 4-byte Folded Reload
	v_add_f64_e32 v[44:45], v[132:133], v[156:157]
	v_add_f64_e32 v[46:47], v[136:137], v[158:159]
	v_add_f64_e64 v[48:49], v[132:133], -v[156:157]
	v_add_f64_e64 v[50:51], v[136:137], -v[158:159]
	v_add_f64_e32 v[132:133], v[144:145], v[152:153]
	v_add_f64_e32 v[136:137], v[146:147], v[154:155]
	v_add_f64_e64 v[144:145], v[144:145], -v[152:153]
	v_add_f64_e64 v[146:147], v[146:147], -v[154:155]
	;; [unrolled: 4-line block ×4, first 2 shown]
	v_add_f64_e64 v[44:45], v[44:45], -v[152:153]
	v_add_f64_e64 v[46:47], v[46:47], -v[154:155]
	;; [unrolled: 1-line block ×6, first 2 shown]
	v_add_f64_e32 v[160:161], v[134:135], v[144:145]
	v_add_f64_e32 v[162:163], v[138:139], v[146:147]
	v_add_f64_e64 v[168:169], v[144:145], -v[48:49]
	v_add_f64_e64 v[170:171], v[146:147], -v[50:51]
	;; [unrolled: 1-line block ×4, first 2 shown]
	v_add_f64_e32 v[148:149], v[152:153], v[148:149]
	v_add_f64_e32 v[150:151], v[154:155], v[150:151]
	v_mul_f64_e32 v[152:153], s[26:27], v[164:165]
	v_mul_f64_e32 v[154:155], s[26:27], v[166:167]
	v_add_f64_e32 v[48:49], v[160:161], v[48:49]
	v_add_f64_e32 v[50:51], v[162:163], v[50:51]
	v_mul_f64_e32 v[160:161], s[28:29], v[168:169]
	v_mul_f64_e32 v[162:163], s[28:29], v[170:171]
	;; [unrolled: 4-line block ×3, first 2 shown]
	v_mul_f64_e32 v[44:45], s[14:15], v[132:133]
	v_mul_f64_e32 v[46:47], s[14:15], v[136:137]
	v_fma_f64 v[148:149], v[148:149], s[24:25], v[144:145]
	v_fma_f64 v[150:151], v[150:151], s[24:25], v[146:147]
	;; [unrolled: 1-line block ×4, first 2 shown]
	v_fma_f64 v[44:45], v[156:157], s[18:19], -v[44:45]
	v_fma_f64 v[46:47], v[158:159], s[18:19], -v[46:47]
	;; [unrolled: 1-line block ×4, first 2 shown]
	v_fma_f64 v[156:157], v[134:135], s[22:23], v[152:153]
	v_fma_f64 v[158:159], v[138:139], s[22:23], v[154:155]
	v_fma_f64 v[152:153], v[168:169], s[10:11], -v[152:153]
	v_fma_f64 v[154:155], v[170:171], s[10:11], -v[154:155]
	v_fma_f64 v[134:135], v[134:135], s[16:17], v[160:161]
	v_fma_f64 v[138:139], v[138:139], s[16:17], v[162:163]
	v_add_f64_e32 v[132:133], v[132:133], v[148:149]
	v_add_f64_e32 v[136:137], v[136:137], v[150:151]
	;; [unrolled: 1-line block ×6, first 2 shown]
	v_fma_f64 v[150:151], v[48:49], s[8:9], v[156:157]
	v_fma_f64 v[148:149], v[50:51], s[8:9], v[158:159]
	v_fma_f64 v[152:153], v[48:49], s[8:9], v[152:153]
	v_fma_f64 v[154:155], v[50:51], s[8:9], v[154:155]
	v_fma_f64 v[48:49], v[48:49], s[8:9], v[134:135]
	v_fma_f64 v[50:51], v[50:51], s[8:9], v[138:139]
	v_add_f64_e64 v[170:171], v[136:137], -v[150:151]
	v_add_f64_e32 v[168:169], v[148:149], v[132:133]
	v_add_f64_e32 v[162:163], v[152:153], v[46:47]
	v_add_f64_e64 v[160:161], v[44:45], -v[154:155]
	v_add_f64_e64 v[166:167], v[38:39], -v[48:49]
	v_add_f64_e32 v[164:165], v[50:51], v[36:37]
	v_add_f64_e32 v[156:157], v[154:155], v[44:45]
	v_add_f64_e64 v[158:159], v[46:47], -v[152:153]
	v_add_f64_e64 v[152:153], v[36:37], -v[50:51]
	v_add_f64_e32 v[154:155], v[48:49], v[38:39]
	v_add_f64_e64 v[148:149], v[132:133], -v[148:149]
	v_add_f64_e32 v[150:151], v[150:151], v[136:137]
	s_wait_loadcnt 0x0
	ds_store_b128 v0, v[144:147] offset:16464
	ds_store_b128 v0, v[168:171] offset:17248
	;; [unrolled: 1-line block ×7, first 2 shown]
	scratch_load_b32 v0, off, off offset:1984 th:TH_LOAD_LU ; 4-byte Folded Reload
	v_add_f64_e32 v[36:37], v[112:113], v[128:129]
	v_add_f64_e32 v[38:39], v[114:115], v[130:131]
	;; [unrolled: 1-line block ×4, first 2 shown]
	v_add_f64_e64 v[44:45], v[112:113], -v[128:129]
	v_add_f64_e64 v[46:47], v[114:115], -v[130:131]
	;; [unrolled: 1-line block ×4, first 2 shown]
	v_add_f64_e32 v[114:115], v[94:95], v[120:121]
	v_add_f64_e32 v[116:117], v[118:119], v[122:123]
	v_add_f64_e64 v[94:95], v[120:121], -v[94:95]
	v_add_f64_e64 v[118:119], v[122:123], -v[118:119]
	v_add_f64_e32 v[120:121], v[48:49], v[36:37]
	v_add_f64_e32 v[122:123], v[50:51], v[38:39]
	v_add_f64_e64 v[124:125], v[48:49], -v[36:37]
	v_add_f64_e64 v[126:127], v[50:51], -v[38:39]
	;; [unrolled: 1-line block ×7, first 2 shown]
	v_add_f64_e32 v[128:129], v[94:95], v[112:113]
	v_add_f64_e64 v[132:133], v[94:95], -v[112:113]
	v_add_f64_e64 v[134:135], v[118:119], -v[92:93]
	v_add_f64_e32 v[130:131], v[118:119], v[92:93]
	v_add_f64_e64 v[92:93], v[92:93], -v[46:47]
	v_add_f64_e64 v[94:95], v[44:45], -v[94:95]
	;; [unrolled: 1-line block ×3, first 2 shown]
	v_add_f64_e32 v[120:121], v[114:115], v[120:121]
	v_add_f64_e32 v[116:117], v[116:117], v[122:123]
	;; [unrolled: 1-line block ×3, first 2 shown]
	v_mul_f64_e32 v[122:123], s[26:27], v[132:133]
	v_mul_f64_e32 v[128:129], s[26:27], v[134:135]
	v_add_f64_e32 v[46:47], v[130:131], v[46:47]
	v_mul_f64_e32 v[130:131], s[28:29], v[136:137]
	v_mul_f64_e32 v[132:133], s[28:29], v[92:93]
	v_add_f64_e32 v[112:113], v[20:21], v[120:121]
	v_add_f64_e32 v[114:115], v[22:23], v[116:117]
	v_mul_f64_e32 v[20:21], s[30:31], v[36:37]
	v_mul_f64_e32 v[22:23], s[30:31], v[38:39]
	;; [unrolled: 1-line block ×4, first 2 shown]
	v_fma_f64 v[92:93], v[92:93], s[10:11], -v[128:129]
	v_fma_f64 v[120:121], v[120:121], s[24:25], v[112:113]
	v_fma_f64 v[116:117], v[116:117], s[24:25], v[114:115]
	;; [unrolled: 1-line block ×4, first 2 shown]
	v_fma_f64 v[36:37], v[124:125], s[18:19], -v[36:37]
	v_fma_f64 v[38:39], v[126:127], s[18:19], -v[38:39]
	;; [unrolled: 1-line block ×4, first 2 shown]
	v_fma_f64 v[124:125], v[94:95], s[22:23], v[122:123]
	v_fma_f64 v[126:127], v[118:119], s[22:23], v[128:129]
	v_fma_f64 v[122:123], v[136:137], s[10:11], -v[122:123]
	v_fma_f64 v[94:95], v[94:95], s[16:17], v[130:131]
	v_fma_f64 v[118:119], v[118:119], s[16:17], v[132:133]
	;; [unrolled: 1-line block ×3, first 2 shown]
	v_add_f64_e32 v[48:49], v[48:49], v[120:121]
	v_add_f64_e32 v[50:51], v[50:51], v[116:117]
	;; [unrolled: 1-line block ×6, first 2 shown]
	v_fma_f64 v[216:217], v[44:45], s[8:9], v[124:125]
	v_fma_f64 v[116:117], v[46:47], s[8:9], v[126:127]
	;; [unrolled: 1-line block ×5, first 2 shown]
	v_add_f64_e64 v[128:129], v[36:37], -v[92:93]
	v_add_f64_e32 v[124:125], v[92:93], v[36:37]
	v_add_f64_e64 v[36:37], v[80:81], -v[88:89]
	v_add_f64_e64 v[138:139], v[50:51], -v[216:217]
	v_add_f64_e32 v[136:137], v[116:117], v[48:49]
	v_add_f64_e32 v[130:131], v[120:121], v[38:39]
	v_add_f64_e64 v[134:135], v[22:23], -v[44:45]
	v_add_f64_e32 v[132:133], v[46:47], v[20:21]
	v_add_f64_e64 v[126:127], v[38:39], -v[120:121]
	v_add_f64_e64 v[120:121], v[20:21], -v[46:47]
	v_add_f64_e32 v[122:123], v[44:45], v[22:23]
	v_add_f64_e64 v[116:117], v[48:49], -v[116:117]
	v_add_f64_e32 v[118:119], v[216:217], v[50:51]
	s_wait_loadcnt 0x0
	ds_store_b128 v0, v[112:115] offset:21952
	ds_store_b128 v0, v[136:139] offset:22736
	ds_store_b128 v0, v[132:135] offset:23520
	ds_store_b128 v0, v[128:131] offset:24304
	ds_store_b128 v0, v[124:127] offset:25088
	ds_store_b128 v0, v[120:123] offset:25872
	ds_store_b128 v0, v[116:119] offset:26656
	scratch_load_b32 v0, off, off offset:1360 th:TH_LOAD_LU ; 4-byte Folded Reload
	v_add_f64_e32 v[20:21], v[80:81], v[88:89]
	v_add_f64_e32 v[22:23], v[72:73], v[90:91]
	;; [unrolled: 1-line block ×4, first 2 shown]
	v_add_f64_e64 v[38:39], v[72:73], -v[90:91]
	v_add_f64_e64 v[48:49], v[74:75], -v[62:63]
	;; [unrolled: 1-line block ×3, first 2 shown]
	v_add_f64_e32 v[62:63], v[84:85], v[66:67]
	v_add_f64_e32 v[72:73], v[64:65], v[60:61]
	v_add_f64_e64 v[66:67], v[66:67], -v[84:85]
	v_add_f64_e64 v[60:61], v[60:61], -v[64:65]
	v_add_f64_e32 v[64:65], v[44:45], v[20:21]
	v_add_f64_e32 v[74:75], v[46:47], v[22:23]
	v_add_f64_e64 v[80:81], v[44:45], -v[20:21]
	v_add_f64_e64 v[82:83], v[46:47], -v[22:23]
	;; [unrolled: 1-line block ×6, first 2 shown]
	v_add_f64_e32 v[84:85], v[66:67], v[48:49]
	v_add_f64_e64 v[88:89], v[66:67], -v[48:49]
	v_add_f64_e64 v[90:91], v[60:61], -v[50:51]
	v_add_f64_e32 v[86:87], v[60:61], v[50:51]
	v_add_f64_e64 v[48:49], v[48:49], -v[36:37]
	v_add_f64_e64 v[50:51], v[50:51], -v[38:39]
	;; [unrolled: 1-line block ×4, first 2 shown]
	v_add_f64_e32 v[64:65], v[62:63], v[64:65]
	v_add_f64_e32 v[72:73], v[72:73], v[74:75]
	;; [unrolled: 1-line block ×3, first 2 shown]
	v_mul_f64_e32 v[74:75], s[26:27], v[88:89]
	v_mul_f64_e32 v[84:85], s[26:27], v[90:91]
	v_add_f64_e32 v[38:39], v[86:87], v[38:39]
	v_mul_f64_e32 v[86:87], s[28:29], v[48:49]
	v_mul_f64_e32 v[88:89], s[28:29], v[50:51]
	v_add_f64_e32 v[60:61], v[8:9], v[64:65]
	v_add_f64_e32 v[62:63], v[10:11], v[72:73]
	v_mul_f64_e32 v[8:9], s[30:31], v[20:21]
	v_mul_f64_e32 v[10:11], s[30:31], v[22:23]
	;; [unrolled: 1-line block ×4, first 2 shown]
	v_fma_f64 v[48:49], v[48:49], s[10:11], -v[74:75]
	v_fma_f64 v[50:51], v[50:51], s[10:11], -v[84:85]
	v_fma_f64 v[64:65], v[64:65], s[24:25], v[60:61]
	v_fma_f64 v[72:73], v[72:73], s[24:25], v[62:63]
	;; [unrolled: 1-line block ×4, first 2 shown]
	v_fma_f64 v[20:21], v[80:81], s[18:19], -v[20:21]
	v_fma_f64 v[22:23], v[82:83], s[18:19], -v[22:23]
	;; [unrolled: 1-line block ×4, first 2 shown]
	v_fma_f64 v[80:81], v[66:67], s[22:23], v[74:75]
	v_fma_f64 v[82:83], v[92:93], s[22:23], v[84:85]
	;; [unrolled: 1-line block ×6, first 2 shown]
	v_add_f64_e32 v[44:45], v[44:45], v[64:65]
	v_add_f64_e32 v[46:47], v[46:47], v[72:73]
	;; [unrolled: 1-line block ×6, first 2 shown]
	v_fma_f64 v[216:217], v[36:37], s[8:9], v[80:81]
	v_fma_f64 v[64:65], v[38:39], s[8:9], v[82:83]
	;; [unrolled: 1-line block ×4, first 2 shown]
	v_add_f64_e64 v[84:85], v[20:21], -v[50:51]
	v_add_f64_e32 v[86:87], v[48:49], v[22:23]
	v_add_f64_e32 v[80:81], v[50:51], v[20:21]
	v_add_f64_e64 v[82:83], v[22:23], -v[48:49]
	v_add_f64_e64 v[94:95], v[46:47], -v[216:217]
	v_add_f64_e32 v[92:93], v[64:65], v[44:45]
	v_add_f64_e64 v[90:91], v[10:11], -v[36:37]
	v_add_f64_e32 v[88:89], v[38:39], v[8:9]
	v_add_f64_e64 v[72:73], v[8:9], -v[38:39]
	v_add_f64_e32 v[74:75], v[36:37], v[10:11]
	v_add_f64_e64 v[64:65], v[44:45], -v[64:65]
	v_add_f64_e32 v[66:67], v[216:217], v[46:47]
	s_wait_loadcnt 0x0
	ds_store_b128 v0, v[60:63] offset:27440
	ds_store_b128 v0, v[92:95] offset:28224
	ds_store_b128 v0, v[88:91] offset:29008
	ds_store_b128 v0, v[84:87] offset:29792
	ds_store_b128 v0, v[80:83] offset:30576
	ds_store_b128 v0, v[72:75] offset:31360
	ds_store_b128 v0, v[64:67] offset:32144
	scratch_load_b32 v0, off, off offset:796 th:TH_LOAD_LU ; 4-byte Folded Reload
	v_add_f64_e32 v[8:9], v[52:53], v[212:213]
	v_add_f64_e32 v[10:11], v[54:55], v[214:215]
	;; [unrolled: 1-line block ×4, first 2 shown]
	v_add_f64_e64 v[20:21], v[52:53], -v[212:213]
	v_add_f64_e64 v[22:23], v[54:55], -v[214:215]
	;; [unrolled: 1-line block ×4, first 2 shown]
	v_add_f64_e32 v[48:49], v[200:201], v[204:205]
	v_add_f64_e32 v[50:51], v[202:203], v[206:207]
	v_add_f64_e64 v[52:53], v[204:205], -v[200:201]
	v_add_f64_e64 v[54:55], v[206:207], -v[202:203]
	v_add_f64_e32 v[198:199], v[36:37], v[8:9]
	v_add_f64_e32 v[200:201], v[38:39], v[10:11]
	v_add_f64_e64 v[202:203], v[36:37], -v[8:9]
	v_add_f64_e64 v[204:205], v[38:39], -v[10:11]
	v_add_f64_e64 v[8:9], v[8:9], -v[48:49]
	v_add_f64_e64 v[10:11], v[10:11], -v[50:51]
	v_add_f64_e64 v[36:37], v[48:49], -v[36:37]
	v_add_f64_e64 v[38:39], v[50:51], -v[38:39]
	v_add_f64_e32 v[206:207], v[52:53], v[44:45]
	v_add_f64_e32 v[208:209], v[54:55], v[46:47]
	v_add_f64_e64 v[210:211], v[52:53], -v[44:45]
	v_add_f64_e64 v[212:213], v[54:55], -v[46:47]
	v_add_f64_e64 v[44:45], v[44:45], -v[20:21]
	v_add_f64_e64 v[46:47], v[46:47], -v[22:23]
	v_add_f64_e64 v[52:53], v[20:21], -v[52:53]
	v_add_f64_e64 v[54:55], v[22:23], -v[54:55]
	v_add_f64_e32 v[48:49], v[48:49], v[198:199]
	v_add_f64_e32 v[50:51], v[50:51], v[200:201]
	v_mul_f64_e32 v[8:9], s[30:31], v[8:9]
	v_mul_f64_e32 v[10:11], s[30:31], v[10:11]
	;; [unrolled: 1-line block ×4, first 2 shown]
	v_add_f64_e32 v[20:21], v[206:207], v[20:21]
	v_add_f64_e32 v[22:23], v[208:209], v[22:23]
	v_mul_f64_e32 v[206:207], s[26:27], v[210:211]
	v_mul_f64_e32 v[208:209], s[26:27], v[212:213]
	;; [unrolled: 1-line block ×4, first 2 shown]
	v_add_f64_e32 v[4:5], v[4:5], v[48:49]
	v_add_f64_e32 v[6:7], v[6:7], v[50:51]
	v_fma_f64 v[36:37], v[36:37], s[14:15], v[8:9]
	v_fma_f64 v[38:39], v[38:39], s[14:15], v[10:11]
	v_fma_f64 v[198:199], v[202:203], s[18:19], -v[198:199]
	v_fma_f64 v[200:201], v[204:205], s[18:19], -v[200:201]
	;; [unrolled: 1-line block ×4, first 2 shown]
	v_fma_f64 v[202:203], v[52:53], s[22:23], v[206:207]
	v_fma_f64 v[204:205], v[54:55], s[22:23], v[208:209]
	v_fma_f64 v[44:45], v[44:45], s[10:11], -v[206:207]
	v_fma_f64 v[52:53], v[52:53], s[16:17], v[210:211]
	v_fma_f64 v[54:55], v[54:55], s[16:17], v[212:213]
	v_fma_f64 v[46:47], v[46:47], s[10:11], -v[208:209]
	v_fma_f64 v[48:49], v[48:49], s[24:25], v[4:5]
	v_fma_f64 v[50:51], v[50:51], s[24:25], v[6:7]
	;; [unrolled: 1-line block ×3, first 2 shown]
	s_delay_alu instid0(VALU_DEP_3) | instskip(NEXT) | instid1(VALU_DEP_3)
	v_add_f64_e32 v[206:207], v[36:37], v[48:49]
	v_add_f64_e32 v[208:209], v[38:39], v[50:51]
	;; [unrolled: 1-line block ×4, first 2 shown]
	v_fma_f64 v[198:199], v[20:21], s[8:9], v[202:203]
	v_fma_f64 v[200:201], v[22:23], s[8:9], v[204:205]
	v_add_f64_e32 v[8:9], v[8:9], v[48:49]
	v_add_f64_e32 v[10:11], v[10:11], v[50:51]
	v_fma_f64 v[202:203], v[20:21], s[8:9], v[44:45]
	v_fma_f64 v[20:21], v[22:23], s[8:9], v[54:55]
	v_fma_f64 v[204:205], v[22:23], s[8:9], v[46:47]
	v_add_f64_e64 v[54:55], v[208:209], -v[198:199]
	v_add_f64_e32 v[52:53], v[200:201], v[206:207]
	v_add_f64_e64 v[50:51], v[10:11], -v[210:211]
	v_add_f64_e32 v[46:47], v[202:203], v[38:39]
	v_add_f64_e32 v[48:49], v[20:21], v[8:9]
	v_add_f64_e64 v[44:45], v[36:37], -v[204:205]
	v_add_f64_e32 v[36:37], v[204:205], v[36:37]
	v_add_f64_e64 v[38:39], v[38:39], -v[202:203]
	v_add_f64_e64 v[20:21], v[8:9], -v[20:21]
	v_add_f64_e32 v[22:23], v[210:211], v[10:11]
	v_add_f64_e64 v[8:9], v[206:207], -v[200:201]
	v_add_f64_e32 v[10:11], v[198:199], v[208:209]
	s_wait_loadcnt 0x0
	ds_store_b128 v0, v[4:7] offset:32928
	ds_store_b128 v0, v[52:55] offset:33712
	;; [unrolled: 1-line block ×7, first 2 shown]
	global_wb scope:SCOPE_SE
	s_wait_dscnt 0x0
	s_barrier_signal -1
	s_barrier_wait -1
	global_inv scope:SCOPE_SE
	ds_load_b128 v[199:202], v196
	ds_load_b128 v[192:195], v196 offset:5488
	ds_load_b128 v[188:191], v196 offset:10976
	;; [unrolled: 1-line block ×21, first 2 shown]
	s_wait_dscnt 0x0
	scratch_store_b128 off, v[0:3], off offset:972 ; 16-byte Folded Spill
	ds_load_b128 v[120:123], v196 offset:7840
	ds_load_b128 v[116:119], v196 offset:13328
	ds_load_b128 v[112:115], v196 offset:18816
	ds_load_b128 v[108:111], v196 offset:24304
	ds_load_b128 v[104:107], v196 offset:29792
	ds_load_b128 v[100:103], v196 offset:35280
	ds_load_b128 v[0:3], v196 offset:3136
	s_wait_dscnt 0x0
	scratch_store_b128 off, v[0:3], off offset:940 ; 16-byte Folded Spill
	ds_load_b128 v[96:99], v196 offset:8624
	ds_load_b128 v[92:95], v196 offset:14112
	ds_load_b128 v[88:91], v196 offset:19600
	ds_load_b128 v[84:87], v196 offset:25088
	ds_load_b128 v[80:83], v196 offset:30576
	ds_load_b128 v[76:79], v196 offset:36064
	ds_load_b128 v[0:3], v196 offset:3920
	;; [unrolled: 9-line block ×3, first 2 shown]
	s_wait_dscnt 0x0
	scratch_store_b128 off, v[0:3], off offset:796 ; 16-byte Folded Spill
	ds_load_b128 v[36:39], v196 offset:10192
	ds_load_b128 v[28:31], v196 offset:15680
	;; [unrolled: 1-line block ×6, first 2 shown]
	s_clause 0x1
	scratch_load_b128 v[0:3], off, off offset:812 th:TH_LOAD_LU
	scratch_load_b128 v[68:71], off, off offset:876 th:TH_LOAD_LU
	s_wait_loadcnt 0x1
	v_mul_f64_e32 v[197:198], v[2:3], v[194:195]
	s_wait_loadcnt 0x0
	v_mul_f64_e32 v[10:11], v[70:71], v[176:177]
	s_delay_alu instid0(VALU_DEP_2) | instskip(SKIP_1) | instid1(VALU_DEP_3)
	v_fma_f64 v[248:249], v[0:1], v[192:193], v[197:198]
	v_mul_f64_e32 v[192:193], v[2:3], v[192:193]
	v_fma_f64 v[10:11], v[68:69], v[178:179], -v[10:11]
	s_delay_alu instid0(VALU_DEP_2) | instskip(SKIP_3) | instid1(VALU_DEP_1)
	v_fma_f64 v[250:251], v[0:1], v[194:195], -v[192:193]
	scratch_load_b128 v[0:3], off, off offset:828 th:TH_LOAD_LU ; 16-byte Folded Reload
	s_wait_loadcnt 0x0
	v_mul_f64_e32 v[192:193], v[2:3], v[190:191]
	v_fma_f64 v[252:253], v[0:1], v[188:189], v[192:193]
	v_mul_f64_e32 v[188:189], v[2:3], v[188:189]
	s_delay_alu instid0(VALU_DEP_1) | instskip(SKIP_4) | instid1(VALU_DEP_2)
	v_fma_f64 v[254:255], v[0:1], v[190:191], -v[188:189]
	scratch_load_b128 v[0:3], off, off offset:844 th:TH_LOAD_LU ; 16-byte Folded Reload
	s_wait_loadcnt 0x0
	v_mul_f64_e32 v[188:189], v[2:3], v[186:187]
	v_mul_f64_e32 v[2:3], v[2:3], v[184:185]
	v_fma_f64 v[32:33], v[0:1], v[184:185], v[188:189]
	s_delay_alu instid0(VALU_DEP_2) | instskip(SKIP_4) | instid1(VALU_DEP_2)
	v_fma_f64 v[8:9], v[0:1], v[186:187], -v[2:3]
	scratch_load_b128 v[0:3], off, off offset:860 th:TH_LOAD_LU ; 16-byte Folded Reload
	s_wait_loadcnt 0x0
	v_mul_f64_e32 v[184:185], v[2:3], v[182:183]
	v_mul_f64_e32 v[6:7], v[2:3], v[180:181]
	v_fma_f64 v[4:5], v[0:1], v[180:181], v[184:185]
	v_mul_f64_e32 v[180:181], v[70:71], v[178:179]
	s_delay_alu instid0(VALU_DEP_3) | instskip(NEXT) | instid1(VALU_DEP_2)
	v_fma_f64 v[6:7], v[0:1], v[182:183], -v[6:7]
	v_fma_f64 v[2:3], v[68:69], v[176:177], v[180:181]
	scratch_load_b128 v[68:71], off, off offset:892 th:TH_LOAD_LU ; 16-byte Folded Reload
	s_wait_loadcnt 0x0
	v_mul_f64_e32 v[176:177], v[70:71], v[170:171]
	v_mul_f64_e32 v[34:35], v[70:71], v[168:169]
	s_delay_alu instid0(VALU_DEP_2) | instskip(NEXT) | instid1(VALU_DEP_2)
	v_fma_f64 v[0:1], v[68:69], v[168:169], v[176:177]
	v_fma_f64 v[70:71], v[68:69], v[170:171], -v[34:35]
	scratch_load_b128 v[168:171], off, off offset:924 th:TH_LOAD_LU ; 16-byte Folded Reload
	s_wait_loadcnt 0x0
	v_mul_f64_e32 v[34:35], v[170:171], v[174:175]
	s_delay_alu instid0(VALU_DEP_1) | instskip(SKIP_1) | instid1(VALU_DEP_1)
	v_fma_f64 v[234:235], v[168:169], v[172:173], v[34:35]
	v_mul_f64_e32 v[34:35], v[170:171], v[172:173]
	v_fma_f64 v[236:237], v[168:169], v[174:175], -v[34:35]
	scratch_load_b128 v[168:171], off, off offset:956 th:TH_LOAD_LU ; 16-byte Folded Reload
	s_wait_loadcnt 0x0
	v_mul_f64_e32 v[34:35], v[170:171], v[166:167]
	s_delay_alu instid0(VALU_DEP_1) | instskip(SKIP_1) | instid1(VALU_DEP_1)
	v_fma_f64 v[226:227], v[168:169], v[164:165], v[34:35]
	v_mul_f64_e32 v[34:35], v[170:171], v[164:165]
	;; [unrolled: 7-line block ×18, first 2 shown]
	v_fma_f64 v[100:101], v[124:125], v[102:103], -v[100:101]
	scratch_load_b128 v[124:127], off, off offset:1624 th:TH_LOAD_LU ; 16-byte Folded Reload
	s_wait_loadcnt 0x0
	v_mul_f64_e32 v[102:103], v[126:127], v[98:99]
	s_delay_alu instid0(VALU_DEP_1) | instskip(SKIP_2) | instid1(VALU_DEP_2)
	v_fma_f64 v[136:137], v[124:125], v[96:97], v[102:103]
	v_mul_f64_e32 v[96:97], v[126:127], v[96:97]
	v_add_f64_e32 v[102:103], v[112:113], v[108:109]
	v_fma_f64 v[138:139], v[124:125], v[98:99], -v[96:97]
	scratch_load_b128 v[124:127], off, off offset:1640 th:TH_LOAD_LU ; 16-byte Folded Reload
	s_wait_loadcnt 0x0
	v_mul_f64_e32 v[96:97], v[126:127], v[94:95]
	s_delay_alu instid0(VALU_DEP_1) | instskip(SKIP_1) | instid1(VALU_DEP_1)
	v_fma_f64 v[128:129], v[124:125], v[92:93], v[96:97]
	v_mul_f64_e32 v[92:93], v[126:127], v[92:93]
	v_fma_f64 v[130:131], v[124:125], v[94:95], -v[92:93]
	scratch_load_b128 v[94:97], off, off offset:1660 th:TH_LOAD_LU ; 16-byte Folded Reload
	s_wait_loadcnt 0x0
	v_mul_f64_e32 v[92:93], v[96:97], v[90:91]
	s_delay_alu instid0(VALU_DEP_1) | instskip(SKIP_1) | instid1(VALU_DEP_1)
	v_fma_f64 v[124:125], v[94:95], v[88:89], v[92:93]
	v_mul_f64_e32 v[88:89], v[96:97], v[88:89]
	;; [unrolled: 7-line block ×5, first 2 shown]
	v_fma_f64 v[146:147], v[82:83], v[78:79], -v[76:77]
	scratch_load_b128 v[78:81], off, off offset:1888 th:TH_LOAD_LU ; 16-byte Folded Reload
	v_add_f64_e64 v[82:83], v[208:209], -v[197:198]
	s_wait_loadcnt 0x0
	v_mul_f64_e32 v[76:77], v[80:81], v[66:67]
	s_delay_alu instid0(VALU_DEP_1) | instskip(SKIP_2) | instid1(VALU_DEP_2)
	v_fma_f64 v[160:161], v[78:79], v[64:65], v[76:77]
	v_mul_f64_e32 v[64:65], v[80:81], v[64:65]
	v_add_f64_e32 v[80:81], v[197:198], v[208:209]
	v_fma_f64 v[162:163], v[78:79], v[66:67], -v[64:65]
	scratch_load_b128 v[76:79], off, off offset:1920 th:TH_LOAD_LU ; 16-byte Folded Reload
	s_wait_loadcnt 0x0
	v_mul_f64_e32 v[64:65], v[78:79], v[62:63]
	s_delay_alu instid0(VALU_DEP_1) | instskip(SKIP_1) | instid1(VALU_DEP_1)
	v_fma_f64 v[152:153], v[76:77], v[60:61], v[64:65]
	v_mul_f64_e32 v[60:61], v[78:79], v[60:61]
	v_fma_f64 v[154:155], v[76:77], v[62:63], -v[60:61]
	scratch_load_b128 v[62:65], off, off offset:1952 th:TH_LOAD_LU ; 16-byte Folded Reload
	s_wait_loadcnt 0x0
	v_mul_f64_e32 v[60:61], v[64:65], v[58:59]
	s_delay_alu instid0(VALU_DEP_1) | instskip(SKIP_1) | instid1(VALU_DEP_1)
	v_fma_f64 v[148:149], v[62:63], v[56:57], v[60:61]
	v_mul_f64_e32 v[56:57], v[64:65], v[56:57]
	;; [unrolled: 7-line block ×3, first 2 shown]
	v_fma_f64 v[158:159], v[58:59], v[54:55], -v[52:53]
	scratch_load_b128 v[54:57], off, off offset:2020 th:TH_LOAD_LU ; 16-byte Folded Reload
	s_wait_loadcnt 0x0
	v_mul_f64_e32 v[52:53], v[56:57], v[50:51]
	s_delay_alu instid0(VALU_DEP_1) | instskip(SKIP_2) | instid1(VALU_DEP_2)
	v_fma_f64 v[164:165], v[54:55], v[48:49], v[52:53]
	v_mul_f64_e32 v[48:49], v[56:57], v[48:49]
	v_add_f64_e64 v[56:57], v[232:233], -v[224:225]
	v_fma_f64 v[166:167], v[54:55], v[50:51], -v[48:49]
	scratch_load_b128 v[50:53], off, off offset:2036 th:TH_LOAD_LU ; 16-byte Folded Reload
	v_add_f64_e64 v[54:55], v[230:231], -v[222:223]
	s_wait_loadcnt 0x0
	v_mul_f64_e32 v[48:49], v[52:53], v[46:47]
	s_delay_alu instid0(VALU_DEP_1) | instskip(SKIP_1) | instid1(VALU_DEP_1)
	v_fma_f64 v[168:169], v[50:51], v[44:45], v[48:49]
	v_mul_f64_e32 v[44:45], v[52:53], v[44:45]
	v_fma_f64 v[170:171], v[50:51], v[46:47], -v[44:45]
	scratch_load_b128 v[46:49], off, off offset:2116 th:TH_LOAD_LU ; 16-byte Folded Reload
	s_wait_loadcnt_dscnt 0x5
	v_mul_f64_e32 v[44:45], v[48:49], v[38:39]
	s_delay_alu instid0(VALU_DEP_1) | instskip(SKIP_1) | instid1(VALU_DEP_1)
	v_fma_f64 v[184:185], v[46:47], v[36:37], v[44:45]
	v_mul_f64_e32 v[36:37], v[48:49], v[36:37]
	v_fma_f64 v[186:187], v[46:47], v[38:39], -v[36:37]
	scratch_load_b128 v[44:47], off, off offset:2148 th:TH_LOAD_LU ; 16-byte Folded Reload
	s_wait_loadcnt_dscnt 0x4
	v_mul_f64_e32 v[36:37], v[46:47], v[30:31]
	s_delay_alu instid0(VALU_DEP_1) | instskip(SKIP_2) | instid1(VALU_DEP_1)
	v_fma_f64 v[180:181], v[44:45], v[28:29], v[36:37]
	scratch_load_b128 v[36:39], off, off offset:2180 th:TH_LOAD_LU ; 16-byte Folded Reload
	v_mul_f64_e32 v[28:29], v[46:47], v[28:29]
	v_fma_f64 v[182:183], v[44:45], v[30:31], -v[28:29]
	s_wait_loadcnt_dscnt 0x3
	v_mul_f64_e32 v[28:29], v[38:39], v[26:27]
	s_delay_alu instid0(VALU_DEP_1) | instskip(SKIP_1) | instid1(VALU_DEP_1)
	v_fma_f64 v[172:173], v[36:37], v[24:25], v[28:29]
	v_mul_f64_e32 v[24:25], v[38:39], v[24:25]
	v_fma_f64 v[174:175], v[36:37], v[26:27], -v[24:25]
	scratch_load_b128 v[26:29], off, off offset:2212 th:TH_LOAD_LU ; 16-byte Folded Reload
	s_wait_loadcnt_dscnt 0x2
	v_mul_f64_e32 v[24:25], v[28:29], v[22:23]
	s_delay_alu instid0(VALU_DEP_1) | instskip(SKIP_1) | instid1(VALU_DEP_1)
	v_fma_f64 v[176:177], v[26:27], v[20:21], v[24:25]
	v_mul_f64_e32 v[20:21], v[28:29], v[20:21]
	v_fma_f64 v[178:179], v[26:27], v[22:23], -v[20:21]
	scratch_load_b128 v[22:25], off, off offset:2276 th:TH_LOAD_LU ; 16-byte Folded Reload
	s_wait_loadcnt_dscnt 0x1
	v_mul_f64_e32 v[20:21], v[24:25], v[18:19]
	s_delay_alu instid0(VALU_DEP_1) | instskip(SKIP_3) | instid1(VALU_DEP_3)
	v_fma_f64 v[188:189], v[22:23], v[16:17], v[20:21]
	v_mul_f64_e32 v[16:17], v[24:25], v[16:17]
	v_add_f64_e32 v[24:25], v[8:9], v[6:7]
	v_add_f64_e64 v[6:7], v[6:7], -v[8:9]
	v_fma_f64 v[190:191], v[22:23], v[18:19], -v[16:17]
	scratch_load_b128 v[18:21], off, off offset:2292 th:TH_LOAD_LU ; 16-byte Folded Reload
	v_add_f64_e32 v[22:23], v[32:33], v[4:5]
	v_add_f64_e64 v[4:5], v[4:5], -v[32:33]
	s_wait_loadcnt_dscnt 0x0
	v_mul_f64_e32 v[16:17], v[20:21], v[14:15]
	s_delay_alu instid0(VALU_DEP_1) | instskip(SKIP_4) | instid1(VALU_DEP_4)
	v_fma_f64 v[192:193], v[18:19], v[12:13], v[16:17]
	v_mul_f64_e32 v[12:13], v[20:21], v[12:13]
	v_add_f64_e32 v[20:21], v[254:255], v[10:11]
	v_add_f64_e64 v[10:11], v[254:255], -v[10:11]
	v_add_f64_e64 v[16:17], v[250:251], -v[70:71]
	v_fma_f64 v[194:195], v[18:19], v[14:15], -v[12:13]
	v_add_f64_e32 v[12:13], v[248:249], v[0:1]
	v_add_f64_e32 v[14:15], v[250:251], v[70:71]
	;; [unrolled: 1-line block ×3, first 2 shown]
	v_add_f64_e64 v[0:1], v[248:249], -v[0:1]
	v_add_f64_e64 v[2:3], v[252:253], -v[2:3]
	v_add_f64_e32 v[36:37], v[6:7], v[10:11]
	v_add_f64_e64 v[44:45], v[6:7], -v[10:11]
	v_add_f64_e64 v[6:7], v[16:17], -v[6:7]
	;; [unrolled: 1-line block ×3, first 2 shown]
	v_add_f64_e32 v[26:27], v[20:21], v[14:15]
	v_add_f64_e32 v[8:9], v[18:19], v[12:13]
	v_add_f64_e64 v[28:29], v[18:19], -v[12:13]
	v_add_f64_e64 v[30:31], v[20:21], -v[14:15]
	;; [unrolled: 1-line block ×6, first 2 shown]
	v_add_f64_e32 v[32:33], v[4:5], v[2:3]
	v_add_f64_e64 v[38:39], v[4:5], -v[2:3]
	v_add_f64_e64 v[2:3], v[2:3], -v[0:1]
	;; [unrolled: 1-line block ×3, first 2 shown]
	v_add_f64_e32 v[16:17], v[36:37], v[16:17]
	v_mul_f64_e32 v[48:49], s[28:29], v[46:47]
	v_add_f64_e32 v[24:25], v[24:25], v[26:27]
	v_add_f64_e32 v[22:23], v[22:23], v[8:9]
	v_mul_f64_e32 v[12:13], s[30:31], v[12:13]
	v_mul_f64_e32 v[14:15], s[30:31], v[14:15]
	;; [unrolled: 1-line block ×3, first 2 shown]
	v_add_f64_e32 v[0:1], v[32:33], v[0:1]
	v_mul_f64_e32 v[32:33], s[14:15], v[20:21]
	v_mul_f64_e32 v[36:37], s[26:27], v[38:39]
	;; [unrolled: 1-line block ×4, first 2 shown]
	v_add_f64_e32 v[10:11], v[201:202], v[24:25]
	v_add_f64_e32 v[8:9], v[199:200], v[22:23]
	v_fma_f64 v[18:19], v[18:19], s[14:15], v[12:13]
	v_fma_f64 v[20:21], v[20:21], s[14:15], v[14:15]
	v_fma_f64 v[26:27], v[28:29], s[18:19], -v[26:27]
	v_fma_f64 v[12:13], v[28:29], s[20:21], -v[12:13]
	;; [unrolled: 1-line block ×4, first 2 shown]
	v_fma_f64 v[28:29], v[4:5], s[22:23], v[36:37]
	v_fma_f64 v[30:31], v[6:7], s[22:23], v[38:39]
	v_fma_f64 v[2:3], v[2:3], s[10:11], -v[36:37]
	v_fma_f64 v[36:37], v[46:47], s[10:11], -v[38:39]
	v_fma_f64 v[4:5], v[4:5], s[16:17], v[44:45]
	v_fma_f64 v[6:7], v[6:7], s[16:17], v[48:49]
	;; [unrolled: 1-line block ×9, first 2 shown]
	v_add_f64_e64 v[6:7], v[236:237], -v[244:245]
	v_add_f64_e32 v[44:45], v[20:21], v[24:25]
	v_add_f64_e32 v[38:39], v[18:19], v[22:23]
	v_add_f64_e32 v[26:27], v[26:27], v[22:23]
	v_add_f64_e32 v[32:33], v[32:33], v[24:25]
	v_add_f64_e32 v[48:49], v[14:15], v[24:25]
	v_fma_f64 v[24:25], v[16:17], s[8:9], v[36:37]
	v_add_f64_e32 v[46:47], v[12:13], v[22:23]
	v_add_f64_e64 v[18:19], v[44:45], -v[50:51]
	v_add_f64_e32 v[16:17], v[52:53], v[38:39]
	v_add_f64_e64 v[36:37], v[38:39], -v[52:53]
	;; [unrolled: 2-line block ×3, first 2 shown]
	v_add_f64_e64 v[20:21], v[26:27], -v[24:25]
	v_add_f64_e32 v[24:25], v[24:25], v[26:27]
	v_add_f64_e64 v[26:27], v[32:33], -v[2:3]
	v_add_f64_e32 v[30:31], v[0:1], v[48:49]
	v_add_f64_e32 v[38:39], v[50:51], v[44:45]
	;; [unrolled: 1-line block ×7, first 2 shown]
	v_add_f64_e64 v[28:29], v[46:47], -v[4:5]
	v_add_f64_e64 v[4:5], v[234:235], -v[242:243]
	;; [unrolled: 1-line block ×4, first 2 shown]
	v_add_f64_e32 v[50:51], v[222:223], v[230:231]
	v_add_f64_e32 v[52:53], v[224:225], v[232:233]
	;; [unrolled: 1-line block ×4, first 2 shown]
	v_add_f64_e64 v[62:63], v[32:33], -v[0:1]
	v_add_f64_e64 v[64:65], v[44:45], -v[2:3]
	v_add_f64_e32 v[66:67], v[54:55], v[46:47]
	v_add_f64_e32 v[70:71], v[56:57], v[48:49]
	v_add_f64_e64 v[0:1], v[0:1], -v[50:51]
	v_add_f64_e64 v[2:3], v[2:3], -v[52:53]
	;; [unrolled: 1-line block ×10, first 2 shown]
	v_add_f64_e32 v[50:51], v[50:51], v[58:59]
	v_add_f64_e32 v[52:53], v[52:53], v[60:61]
	;; [unrolled: 1-line block ×4, first 2 shown]
	v_mul_f64_e32 v[0:1], s[30:31], v[0:1]
	v_mul_f64_e32 v[2:3], s[30:31], v[2:3]
	;; [unrolled: 1-line block ×8, first 2 shown]
	v_add_f64_e32 v[40:41], v[40:41], v[50:51]
	v_add_f64_e32 v[42:43], v[42:43], v[52:53]
	v_fma_f64 v[32:33], v[32:33], s[14:15], v[0:1]
	v_fma_f64 v[44:45], v[44:45], s[14:15], v[2:3]
	v_fma_f64 v[58:59], v[62:63], s[18:19], -v[58:59]
	v_fma_f64 v[60:61], v[64:65], s[18:19], -v[60:61]
	;; [unrolled: 1-line block ×4, first 2 shown]
	v_fma_f64 v[62:63], v[54:55], s[22:23], v[66:67]
	v_fma_f64 v[64:65], v[56:57], s[22:23], v[70:71]
	v_fma_f64 v[46:47], v[46:47], s[10:11], -v[66:67]
	v_fma_f64 v[48:49], v[48:49], s[10:11], -v[70:71]
	v_fma_f64 v[54:55], v[54:55], s[16:17], v[76:77]
	v_fma_f64 v[56:57], v[56:57], s[16:17], v[78:79]
	v_add_f64_e32 v[78:79], v[34:35], v[206:207]
	v_add_f64_e64 v[34:35], v[206:207], -v[34:35]
	v_fma_f64 v[50:51], v[50:51], s[24:25], v[40:41]
	v_fma_f64 v[52:53], v[52:53], s[24:25], v[42:43]
	;; [unrolled: 1-line block ×8, first 2 shown]
	v_add_f64_e32 v[32:33], v[32:33], v[50:51]
	v_add_f64_e32 v[66:67], v[44:45], v[52:53]
	;; [unrolled: 1-line block ×7, first 2 shown]
	v_add_f64_e64 v[50:51], v[66:67], -v[70:71]
	v_add_f64_e64 v[52:53], v[58:59], -v[76:77]
	v_add_f64_e32 v[54:55], v[62:63], v[60:61]
	v_add_f64_e32 v[44:45], v[6:7], v[0:1]
	v_add_f64_e64 v[46:47], v[2:3], -v[4:5]
	v_add_f64_e32 v[56:57], v[76:77], v[58:59]
	v_add_f64_e64 v[58:59], v[60:61], -v[62:63]
	v_add_f64_e64 v[60:61], v[0:1], -v[6:7]
	v_add_f64_e32 v[62:63], v[4:5], v[2:3]
	v_add_f64_e64 v[64:65], v[32:33], -v[64:65]
	v_add_f64_e32 v[66:67], v[70:71], v[66:67]
	v_add_f64_e32 v[0:1], v[210:211], v[218:219]
	;; [unrolled: 1-line block ×5, first 2 shown]
	v_add_f64_e64 v[4:5], v[210:211], -v[218:219]
	v_add_f64_e64 v[6:7], v[212:213], -v[220:221]
	;; [unrolled: 1-line block ×4, first 2 shown]
	v_add_f64_e32 v[84:85], v[32:33], v[0:1]
	v_add_f64_e32 v[86:87], v[70:71], v[2:3]
	v_add_f64_e64 v[88:89], v[32:33], -v[0:1]
	v_add_f64_e64 v[90:91], v[70:71], -v[2:3]
	v_add_f64_e64 v[0:1], v[0:1], -v[78:79]
	v_add_f64_e64 v[2:3], v[2:3], -v[80:81]
	v_add_f64_e64 v[32:33], v[78:79], -v[32:33]
	v_add_f64_e64 v[70:71], v[80:81], -v[70:71]
	v_add_f64_e32 v[92:93], v[34:35], v[68:69]
	v_add_f64_e32 v[94:95], v[82:83], v[76:77]
	v_add_f64_e64 v[96:97], v[34:35], -v[68:69]
	v_add_f64_e64 v[98:99], v[82:83], -v[76:77]
	;; [unrolled: 1-line block ×6, first 2 shown]
	v_add_f64_e32 v[78:79], v[78:79], v[84:85]
	v_add_f64_e32 v[80:81], v[80:81], v[86:87]
	v_mul_f64_e32 v[0:1], s[30:31], v[0:1]
	v_mul_f64_e32 v[2:3], s[30:31], v[2:3]
	;; [unrolled: 1-line block ×4, first 2 shown]
	v_add_f64_e32 v[4:5], v[92:93], v[4:5]
	v_add_f64_e32 v[6:7], v[94:95], v[6:7]
	v_mul_f64_e32 v[92:93], s[26:27], v[96:97]
	v_mul_f64_e32 v[94:95], s[26:27], v[98:99]
	;; [unrolled: 1-line block ×4, first 2 shown]
	v_add_f64_e32 v[72:73], v[72:73], v[78:79]
	v_add_f64_e32 v[74:75], v[74:75], v[80:81]
	v_fma_f64 v[32:33], v[32:33], s[14:15], v[0:1]
	v_fma_f64 v[70:71], v[70:71], s[14:15], v[2:3]
	v_fma_f64 v[84:85], v[88:89], s[18:19], -v[84:85]
	v_fma_f64 v[86:87], v[90:91], s[18:19], -v[86:87]
	;; [unrolled: 1-line block ×4, first 2 shown]
	v_fma_f64 v[88:89], v[34:35], s[22:23], v[92:93]
	v_fma_f64 v[90:91], v[82:83], s[22:23], v[94:95]
	v_fma_f64 v[68:69], v[68:69], s[10:11], -v[92:93]
	v_fma_f64 v[76:77], v[76:77], s[10:11], -v[94:95]
	v_fma_f64 v[34:35], v[34:35], s[16:17], v[96:97]
	v_fma_f64 v[82:83], v[82:83], s[16:17], v[98:99]
	v_fma_f64 v[78:79], v[78:79], s[24:25], v[72:73]
	v_fma_f64 v[80:81], v[80:81], s[24:25], v[74:75]
	v_fma_f64 v[98:99], v[4:5], s[8:9], v[88:89]
	v_fma_f64 v[96:97], v[6:7], s[8:9], v[90:91]
	v_fma_f64 v[68:69], v[4:5], s[8:9], v[68:69]
	v_fma_f64 v[88:89], v[6:7], s[8:9], v[76:77]
	v_fma_f64 v[4:5], v[4:5], s[8:9], v[34:35]
	v_fma_f64 v[6:7], v[6:7], s[8:9], v[82:83]
	v_add_f64_e32 v[34:35], v[118:119], v[104:105]
	v_add_f64_e32 v[92:93], v[84:85], v[78:79]
	;; [unrolled: 1-line block ×7, first 2 shown]
	v_add_f64_e64 v[84:85], v[92:93], -v[88:89]
	v_add_f64_e64 v[82:83], v[70:71], -v[98:99]
	v_add_f64_e32 v[86:87], v[68:69], v[94:95]
	v_add_f64_e32 v[76:77], v[6:7], v[0:1]
	v_add_f64_e64 v[78:79], v[2:3], -v[4:5]
	v_add_f64_e32 v[88:89], v[88:89], v[92:93]
	v_add_f64_e64 v[90:91], v[94:95], -v[68:69]
	v_add_f64_e64 v[92:93], v[0:1], -v[6:7]
	v_add_f64_e32 v[94:95], v[4:5], v[2:3]
	v_add_f64_e32 v[98:99], v[98:99], v[70:71]
	;; [unrolled: 1-line block ×3, first 2 shown]
	v_add_f64_e64 v[4:5], v[246:247], -v[106:107]
	v_add_f64_e64 v[6:7], v[122:123], -v[100:101]
	;; [unrolled: 1-line block ×6, first 2 shown]
	v_add_f64_e32 v[80:81], v[96:97], v[32:33]
	v_add_f64_e64 v[96:97], v[32:33], -v[96:97]
	v_add_f64_e32 v[2:3], v[122:123], v[100:101]
	v_add_f64_e32 v[32:33], v[120:121], v[110:111]
	v_add_f64_e32 v[100:101], v[116:117], v[114:115]
	v_add_f64_e64 v[197:198], v[68:69], -v[4:5]
	v_add_f64_e64 v[199:200], v[70:71], -v[6:7]
	v_add_f64_e32 v[116:117], v[104:105], v[68:69]
	v_add_f64_e32 v[118:119], v[106:107], v[70:71]
	v_add_f64_e64 v[120:121], v[104:105], -v[68:69]
	v_add_f64_e64 v[122:123], v[106:107], -v[70:71]
	scratch_load_b128 v[68:71], off, off offset:972 th:TH_LOAD_LU ; 16-byte Folded Reload
	v_add_f64_e32 v[108:109], v[32:33], v[0:1]
	v_add_f64_e32 v[110:111], v[34:35], v[2:3]
	v_add_f64_e64 v[112:113], v[32:33], -v[0:1]
	v_add_f64_e64 v[114:115], v[34:35], -v[2:3]
	;; [unrolled: 1-line block ×8, first 2 shown]
	v_add_f64_e32 v[4:5], v[116:117], v[4:5]
	v_add_f64_e32 v[6:7], v[118:119], v[6:7]
	v_mul_f64_e32 v[116:117], s[26:27], v[120:121]
	v_mul_f64_e32 v[118:119], s[26:27], v[122:123]
	;; [unrolled: 1-line block ×3, first 2 shown]
	v_add_f64_e32 v[100:101], v[100:101], v[108:109]
	v_add_f64_e32 v[102:103], v[102:103], v[110:111]
	v_mul_f64_e32 v[122:123], s[28:29], v[199:200]
	v_mul_f64_e32 v[0:1], s[30:31], v[0:1]
	;; [unrolled: 1-line block ×5, first 2 shown]
	s_delay_alu instid0(VALU_DEP_4) | instskip(NEXT) | instid1(VALU_DEP_4)
	v_fma_f64 v[32:33], v[32:33], s[14:15], v[0:1]
	v_fma_f64 v[34:35], v[34:35], s[14:15], v[2:3]
	s_delay_alu instid0(VALU_DEP_4) | instskip(NEXT) | instid1(VALU_DEP_4)
	v_fma_f64 v[108:109], v[112:113], s[18:19], -v[108:109]
	v_fma_f64 v[110:111], v[114:115], s[18:19], -v[110:111]
	;; [unrolled: 1-line block ×4, first 2 shown]
	v_fma_f64 v[112:113], v[104:105], s[22:23], v[116:117]
	v_fma_f64 v[114:115], v[106:107], s[22:23], v[118:119]
	v_fma_f64 v[116:117], v[197:198], s[10:11], -v[116:117]
	v_fma_f64 v[118:119], v[199:200], s[10:11], -v[118:119]
	v_fma_f64 v[104:105], v[104:105], s[16:17], v[120:121]
	v_fma_f64 v[106:107], v[106:107], s[16:17], v[122:123]
	;; [unrolled: 1-line block ×8, first 2 shown]
	s_wait_loadcnt 0x0
	v_add_f64_e32 v[68:69], v[68:69], v[100:101]
	v_add_f64_e32 v[70:71], v[70:71], v[102:103]
	s_delay_alu instid0(VALU_DEP_2) | instskip(NEXT) | instid1(VALU_DEP_2)
	v_fma_f64 v[100:101], v[100:101], s[24:25], v[68:69]
	v_fma_f64 v[102:103], v[102:103], s[24:25], v[70:71]
	s_delay_alu instid0(VALU_DEP_2) | instskip(NEXT) | instid1(VALU_DEP_2)
	v_add_f64_e32 v[32:33], v[32:33], v[100:101]
	v_add_f64_e32 v[34:35], v[34:35], v[102:103]
	;; [unrolled: 1-line block ×7, first 2 shown]
	v_add_f64_e64 v[106:107], v[34:35], -v[197:198]
	v_add_f64_e64 v[108:109], v[120:121], -v[112:113]
	v_add_f64_e32 v[110:111], v[114:115], v[122:123]
	v_add_f64_e32 v[100:101], v[6:7], v[0:1]
	v_add_f64_e64 v[102:103], v[2:3], -v[4:5]
	v_add_f64_e32 v[112:113], v[112:113], v[120:121]
	v_add_f64_e64 v[114:115], v[122:123], -v[114:115]
	v_add_f64_e64 v[116:117], v[0:1], -v[6:7]
	v_add_f64_e32 v[118:119], v[4:5], v[2:3]
	v_add_f64_e64 v[120:121], v[32:33], -v[199:200]
	v_add_f64_e32 v[122:123], v[197:198], v[34:35]
	v_add_f64_e32 v[0:1], v[136:137], v[144:145]
	;; [unrolled: 1-line block ×3, first 2 shown]
	v_add_f64_e64 v[4:5], v[136:137], -v[144:145]
	v_add_f64_e64 v[6:7], v[138:139], -v[146:147]
	v_add_f64_e32 v[32:33], v[128:129], v[140:141]
	v_add_f64_e32 v[34:35], v[130:131], v[142:143]
	v_add_f64_e64 v[128:129], v[128:129], -v[140:141]
	v_add_f64_e64 v[130:131], v[130:131], -v[142:143]
	v_add_f64_e32 v[136:137], v[124:125], v[132:133]
	v_add_f64_e32 v[138:139], v[126:127], v[134:135]
	;; [unrolled: 4-line block ×3, first 2 shown]
	v_add_f64_e64 v[140:141], v[32:33], -v[0:1]
	v_add_f64_e64 v[142:143], v[34:35], -v[2:3]
	;; [unrolled: 1-line block ×4, first 2 shown]
	v_add_f64_e32 v[32:33], v[124:125], v[128:129]
	v_add_f64_e32 v[34:35], v[126:127], v[130:131]
	v_add_f64_e64 v[197:198], v[124:125], -v[128:129]
	v_add_f64_e64 v[199:200], v[126:127], -v[130:131]
	;; [unrolled: 1-line block ×8, first 2 shown]
	v_add_f64_e32 v[132:133], v[136:137], v[132:133]
	v_add_f64_e32 v[134:135], v[138:139], v[134:135]
	v_mul_f64_e32 v[136:137], s[14:15], v[144:145]
	v_mul_f64_e32 v[138:139], s[14:15], v[146:147]
	v_add_f64_e32 v[4:5], v[32:33], v[4:5]
	v_add_f64_e32 v[6:7], v[34:35], v[6:7]
	scratch_load_b128 v[32:35], off, off offset:940 th:TH_LOAD_LU ; 16-byte Folded Reload
	v_mul_f64_e32 v[197:198], s[26:27], v[197:198]
	v_mul_f64_e32 v[199:200], s[26:27], v[199:200]
	;; [unrolled: 1-line block ×6, first 2 shown]
	v_fma_f64 v[136:137], v[140:141], s[18:19], -v[136:137]
	v_fma_f64 v[138:139], v[142:143], s[18:19], -v[138:139]
	;; [unrolled: 1-line block ×4, first 2 shown]
	v_fma_f64 v[144:145], v[144:145], s[14:15], v[0:1]
	v_fma_f64 v[146:147], v[146:147], s[14:15], v[2:3]
	v_fma_f64 v[0:1], v[140:141], s[20:21], -v[0:1]
	v_fma_f64 v[2:3], v[142:143], s[20:21], -v[2:3]
	v_fma_f64 v[140:141], v[124:125], s[22:23], v[197:198]
	v_fma_f64 v[142:143], v[126:127], s[22:23], v[199:200]
	;; [unrolled: 1-line block ×4, first 2 shown]
	s_delay_alu instid0(VALU_DEP_4) | instskip(NEXT) | instid1(VALU_DEP_4)
	v_fma_f64 v[197:198], v[4:5], s[8:9], v[140:141]
	v_fma_f64 v[199:200], v[6:7], s[8:9], v[142:143]
	;; [unrolled: 1-line block ×6, first 2 shown]
	s_wait_loadcnt 0x0
	v_add_f64_e32 v[32:33], v[32:33], v[132:133]
	v_add_f64_e32 v[34:35], v[34:35], v[134:135]
	s_delay_alu instid0(VALU_DEP_2) | instskip(NEXT) | instid1(VALU_DEP_2)
	v_fma_f64 v[132:133], v[132:133], s[24:25], v[32:33]
	v_fma_f64 v[134:135], v[134:135], s[24:25], v[34:35]
	s_delay_alu instid0(VALU_DEP_2) | instskip(NEXT) | instid1(VALU_DEP_2)
	v_add_f64_e32 v[136:137], v[136:137], v[132:133]
	v_add_f64_e32 v[138:139], v[138:139], v[134:135]
	;; [unrolled: 1-line block ×6, first 2 shown]
	v_add_f64_e64 v[132:133], v[136:137], -v[142:143]
	v_add_f64_e32 v[134:135], v[140:141], v[138:139]
	v_add_f64_e32 v[124:125], v[6:7], v[0:1]
	v_add_f64_e64 v[126:127], v[2:3], -v[4:5]
	v_add_f64_e32 v[136:137], v[142:143], v[136:137]
	v_add_f64_e64 v[138:139], v[138:139], -v[140:141]
	v_add_f64_e64 v[140:141], v[0:1], -v[6:7]
	v_add_f64_e32 v[142:143], v[4:5], v[2:3]
	v_add_f64_e32 v[0:1], v[160:161], v[168:169]
	;; [unrolled: 1-line block ×3, first 2 shown]
	v_add_f64_e64 v[4:5], v[160:161], -v[168:169]
	v_add_f64_e64 v[6:7], v[162:163], -v[170:171]
	v_add_f64_e32 v[160:161], v[152:153], v[164:165]
	v_add_f64_e32 v[162:163], v[154:155], v[166:167]
	v_add_f64_e64 v[152:153], v[152:153], -v[164:165]
	v_add_f64_e64 v[154:155], v[154:155], -v[166:167]
	v_add_f64_e32 v[164:165], v[148:149], v[156:157]
	v_add_f64_e32 v[166:167], v[150:151], v[158:159]
	v_add_f64_e64 v[148:149], v[156:157], -v[148:149]
	v_add_f64_e64 v[150:151], v[158:159], -v[150:151]
	v_add_f64_e32 v[128:129], v[199:200], v[144:145]
	v_add_f64_e64 v[130:131], v[146:147], -v[197:198]
	v_add_f64_e64 v[144:145], v[144:145], -v[199:200]
	v_add_f64_e32 v[146:147], v[197:198], v[146:147]
	v_add_f64_e32 v[156:157], v[160:161], v[0:1]
	;; [unrolled: 1-line block ×3, first 2 shown]
	v_add_f64_e64 v[168:169], v[160:161], -v[0:1]
	v_add_f64_e64 v[170:171], v[162:163], -v[2:3]
	;; [unrolled: 1-line block ×4, first 2 shown]
	v_add_f64_e32 v[197:198], v[148:149], v[152:153]
	v_add_f64_e32 v[199:200], v[150:151], v[154:155]
	v_add_f64_e64 v[160:161], v[164:165], -v[160:161]
	v_add_f64_e64 v[162:163], v[166:167], -v[162:163]
	;; [unrolled: 1-line block ×8, first 2 shown]
	v_add_f64_e32 v[156:157], v[164:165], v[156:157]
	v_add_f64_e32 v[158:159], v[166:167], v[158:159]
	v_mul_f64_e32 v[0:1], s[30:31], v[0:1]
	v_mul_f64_e32 v[2:3], s[30:31], v[2:3]
	v_add_f64_e32 v[164:165], v[197:198], v[4:5]
	v_add_f64_e32 v[166:167], v[199:200], v[6:7]
	scratch_load_b128 v[4:7], off, off offset:908 th:TH_LOAD_LU ; 16-byte Folded Reload
	v_mul_f64_e32 v[197:198], s[14:15], v[160:161]
	v_mul_f64_e32 v[199:200], s[14:15], v[162:163]
	;; [unrolled: 1-line block ×6, first 2 shown]
	v_fma_f64 v[160:161], v[160:161], s[14:15], v[0:1]
	v_fma_f64 v[162:163], v[162:163], s[14:15], v[2:3]
	v_fma_f64 v[0:1], v[168:169], s[20:21], -v[0:1]
	v_fma_f64 v[2:3], v[170:171], s[20:21], -v[2:3]
	;; [unrolled: 1-line block ×4, first 2 shown]
	v_fma_f64 v[168:169], v[148:149], s[22:23], v[201:202]
	v_fma_f64 v[170:171], v[150:151], s[22:23], v[203:204]
	v_fma_f64 v[152:153], v[152:153], s[10:11], -v[201:202]
	v_fma_f64 v[148:149], v[148:149], s[16:17], v[205:206]
	v_fma_f64 v[150:151], v[150:151], s[16:17], v[207:208]
	v_fma_f64 v[154:155], v[154:155], s[10:11], -v[203:204]
	s_delay_alu instid0(VALU_DEP_3) | instskip(SKIP_3) | instid1(VALU_DEP_2)
	v_fma_f64 v[205:206], v[164:165], s[8:9], v[148:149]
	s_wait_loadcnt 0x0
	v_add_f64_e32 v[4:5], v[4:5], v[156:157]
	v_add_f64_e32 v[6:7], v[6:7], v[158:159]
	v_fma_f64 v[156:157], v[156:157], s[24:25], v[4:5]
	s_delay_alu instid0(VALU_DEP_2) | instskip(NEXT) | instid1(VALU_DEP_2)
	v_fma_f64 v[158:159], v[158:159], s[24:25], v[6:7]
	v_add_f64_e32 v[201:202], v[160:161], v[156:157]
	v_add_f64_e32 v[160:161], v[197:198], v[156:157]
	;; [unrolled: 1-line block ×3, first 2 shown]
	s_delay_alu instid0(VALU_DEP_4)
	v_add_f64_e32 v[2:3], v[2:3], v[158:159]
	v_fma_f64 v[197:198], v[164:165], s[8:9], v[168:169]
	v_fma_f64 v[168:169], v[166:167], s[8:9], v[170:171]
	v_fma_f64 v[170:171], v[164:165], s[8:9], v[152:153]
	v_fma_f64 v[164:165], v[166:167], s[8:9], v[150:151]
	v_add_f64_e32 v[203:204], v[162:163], v[158:159]
	v_add_f64_e32 v[162:163], v[199:200], v[158:159]
	v_fma_f64 v[199:200], v[166:167], s[8:9], v[154:155]
	v_add_f64_e64 v[150:151], v[2:3], -v[205:206]
	v_add_f64_e32 v[166:167], v[205:206], v[2:3]
	v_add_f64_e32 v[2:3], v[186:187], v[194:195]
	v_add_f64_e64 v[186:187], v[186:187], -v[194:195]
	v_add_f64_e32 v[148:149], v[164:165], v[0:1]
	v_add_f64_e64 v[164:165], v[0:1], -v[164:165]
	;; [unrolled: 2-line block ×3, first 2 shown]
	v_add_f64_e32 v[192:193], v[180:181], v[188:189]
	v_add_f64_e32 v[194:195], v[182:183], v[190:191]
	v_add_f64_e64 v[180:181], v[180:181], -v[188:189]
	v_add_f64_e64 v[182:183], v[182:183], -v[190:191]
	v_add_f64_e32 v[188:189], v[172:173], v[176:177]
	v_add_f64_e32 v[190:191], v[174:175], v[178:179]
	v_add_f64_e64 v[172:173], v[176:177], -v[172:173]
	v_add_f64_e64 v[174:175], v[178:179], -v[174:175]
	v_add_f64_e32 v[152:153], v[168:169], v[201:202]
	v_add_f64_e64 v[154:155], v[203:204], -v[197:198]
	v_add_f64_e64 v[156:157], v[160:161], -v[199:200]
	v_add_f64_e32 v[158:159], v[170:171], v[162:163]
	v_add_f64_e32 v[160:161], v[199:200], v[160:161]
	v_add_f64_e64 v[162:163], v[162:163], -v[170:171]
	v_add_f64_e64 v[168:169], v[201:202], -v[168:169]
	v_add_f64_e32 v[170:171], v[197:198], v[203:204]
	v_add_f64_e32 v[176:177], v[192:193], v[0:1]
	;; [unrolled: 1-line block ×3, first 2 shown]
	v_add_f64_e64 v[197:198], v[192:193], -v[0:1]
	v_add_f64_e64 v[199:200], v[194:195], -v[2:3]
	;; [unrolled: 1-line block ×4, first 2 shown]
	v_add_f64_e32 v[0:1], v[172:173], v[180:181]
	v_add_f64_e32 v[2:3], v[174:175], v[182:183]
	v_add_f64_e64 v[205:206], v[172:173], -v[180:181]
	v_add_f64_e64 v[207:208], v[174:175], -v[182:183]
	;; [unrolled: 1-line block ×8, first 2 shown]
	v_add_f64_e32 v[176:177], v[188:189], v[176:177]
	v_add_f64_e32 v[178:179], v[190:191], v[178:179]
	v_mul_f64_e32 v[188:189], s[30:31], v[201:202]
	v_mul_f64_e32 v[190:191], s[30:31], v[203:204]
	v_add_f64_e32 v[184:185], v[0:1], v[184:185]
	v_add_f64_e32 v[186:187], v[2:3], v[186:187]
	scratch_load_b128 v[0:3], off, off offset:796 th:TH_LOAD_LU ; 16-byte Folded Reload
	v_mul_f64_e32 v[205:206], s[26:27], v[205:206]
	v_mul_f64_e32 v[207:208], s[26:27], v[207:208]
	;; [unrolled: 1-line block ×6, first 2 shown]
	v_fma_f64 v[192:193], v[192:193], s[14:15], v[188:189]
	v_fma_f64 v[194:195], v[194:195], s[14:15], v[190:191]
	v_fma_f64 v[188:189], v[197:198], s[20:21], -v[188:189]
	v_fma_f64 v[190:191], v[199:200], s[20:21], -v[190:191]
	;; [unrolled: 1-line block ×6, first 2 shown]
	v_fma_f64 v[197:198], v[172:173], s[22:23], v[205:206]
	v_fma_f64 v[199:200], v[174:175], s[22:23], v[207:208]
	;; [unrolled: 1-line block ×10, first 2 shown]
	s_wait_loadcnt 0x0
	v_add_f64_e32 v[0:1], v[0:1], v[176:177]
	v_add_f64_e32 v[2:3], v[2:3], v[178:179]
	s_delay_alu instid0(VALU_DEP_2) | instskip(NEXT) | instid1(VALU_DEP_2)
	v_fma_f64 v[176:177], v[176:177], s[24:25], v[0:1]
	v_fma_f64 v[178:179], v[178:179], s[24:25], v[2:3]
	s_delay_alu instid0(VALU_DEP_2) | instskip(NEXT) | instid1(VALU_DEP_2)
	v_add_f64_e32 v[192:193], v[192:193], v[176:177]
	v_add_f64_e32 v[194:195], v[194:195], v[178:179]
	;; [unrolled: 1-line block ×7, first 2 shown]
	v_add_f64_e64 v[174:175], v[194:195], -v[197:198]
	v_add_f64_e64 v[180:181], v[201:202], -v[207:208]
	v_add_f64_e32 v[182:183], v[205:206], v[203:204]
	v_add_f64_e32 v[176:177], v[211:212], v[188:189]
	v_add_f64_e64 v[178:179], v[190:191], -v[209:210]
	v_add_f64_e32 v[184:185], v[207:208], v[201:202]
	v_add_f64_e64 v[186:187], v[203:204], -v[205:206]
	v_add_f64_e64 v[188:189], v[188:189], -v[211:212]
	v_add_f64_e32 v[190:191], v[209:210], v[190:191]
	v_add_f64_e64 v[192:193], v[192:193], -v[199:200]
	v_add_f64_e32 v[194:195], v[197:198], v[194:195]
	ds_store_b128 v196, v[8:11]
	ds_store_b128 v196, v[16:19] offset:5488
	ds_store_b128 v196, v[12:15] offset:10976
	;; [unrolled: 1-line block ×48, first 2 shown]
	global_wb scope:SCOPE_SE
	s_wait_storecnt_dscnt 0x0
	s_barrier_signal -1
	s_barrier_wait -1
	global_inv scope:SCOPE_SE
	s_clause 0x1
	scratch_load_b128 v[6:9], off, off offset:44 th:TH_LOAD_LU
	scratch_load_b128 v[10:13], off, off offset:28 th:TH_LOAD_LU
	ds_load_b128 v[0:3], v196
	s_wait_loadcnt_dscnt 0x100
	v_mul_f64_e32 v[4:5], v[8:9], v[2:3]
	s_delay_alu instid0(VALU_DEP_1) | instskip(SKIP_1) | instid1(VALU_DEP_2)
	v_fma_f64 v[4:5], v[6:7], v[0:1], v[4:5]
	v_mul_f64_e32 v[0:1], v[8:9], v[0:1]
	v_mul_f64_e32 v[4:5], s[4:5], v[4:5]
	s_delay_alu instid0(VALU_DEP_2) | instskip(SKIP_4) | instid1(VALU_DEP_1)
	v_fma_f64 v[0:1], v[6:7], v[2:3], -v[0:1]
	scratch_load_b32 v2, off, off th:TH_LOAD_LU ; 4-byte Folded Reload
	v_mul_f64_e32 v[6:7], s[4:5], v[0:1]
	s_wait_loadcnt 0x0
	v_mad_co_u64_u32 v[0:1], null, s0, v2, 0
	v_mad_co_u64_u32 v[1:2], null, s1, v2, v[1:2]
	scratch_load_b64 v[2:3], off, off offset:20 th:TH_LOAD_LU ; 8-byte Folded Reload
	s_mul_u64 s[0:1], s[0:1], s[2:3]
	v_lshlrev_b64_e32 v[0:1], 4, v[0:1]
	s_wait_loadcnt 0x0
	v_lshlrev_b64_e32 v[2:3], 4, v[2:3]
	s_delay_alu instid0(VALU_DEP_1) | instskip(SKIP_1) | instid1(VALU_DEP_2)
	v_add_co_u32 v2, vcc_lo, s12, v2
	s_wait_alu 0xfffd
	v_add_co_ci_u32_e32 v3, vcc_lo, s13, v3, vcc_lo
	s_delay_alu instid0(VALU_DEP_2) | instskip(SKIP_1) | instid1(VALU_DEP_2)
	v_add_co_u32 v8, vcc_lo, v2, v0
	s_wait_alu 0xfffd
	v_add_co_ci_u32_e32 v9, vcc_lo, v3, v1, vcc_lo
	ds_load_b128 v[0:3], v196 offset:5488
	global_store_b128 v[8:9], v[4:7], off
	v_add_co_u32 v8, vcc_lo, v8, s6
	s_wait_alu 0xfffd
	v_add_co_ci_u32_e32 v9, vcc_lo, s7, v9, vcc_lo
	s_wait_dscnt 0x0
	v_mul_f64_e32 v[4:5], v[12:13], v[2:3]
	s_delay_alu instid0(VALU_DEP_1) | instskip(SKIP_1) | instid1(VALU_DEP_2)
	v_fma_f64 v[4:5], v[10:11], v[0:1], v[4:5]
	v_mul_f64_e32 v[0:1], v[12:13], v[0:1]
	v_mul_f64_e32 v[4:5], s[4:5], v[4:5]
	s_delay_alu instid0(VALU_DEP_2)
	v_fma_f64 v[0:1], v[10:11], v[2:3], -v[0:1]
	scratch_load_b128 v[10:13], off, off offset:60 th:TH_LOAD_LU ; 16-byte Folded Reload
	v_mul_f64_e32 v[6:7], s[4:5], v[0:1]
	ds_load_b128 v[0:3], v196 offset:10976
	global_store_b128 v[8:9], v[4:7], off
	v_add_co_u32 v8, vcc_lo, v8, s6
	s_wait_alu 0xfffd
	v_add_co_ci_u32_e32 v9, vcc_lo, s7, v9, vcc_lo
	s_wait_loadcnt_dscnt 0x0
	v_mul_f64_e32 v[4:5], v[12:13], v[2:3]
	s_delay_alu instid0(VALU_DEP_1) | instskip(SKIP_1) | instid1(VALU_DEP_2)
	v_fma_f64 v[4:5], v[10:11], v[0:1], v[4:5]
	v_mul_f64_e32 v[0:1], v[12:13], v[0:1]
	v_mul_f64_e32 v[4:5], s[4:5], v[4:5]
	s_delay_alu instid0(VALU_DEP_2)
	v_fma_f64 v[0:1], v[10:11], v[2:3], -v[0:1]
	scratch_load_b128 v[10:13], off, off offset:76 th:TH_LOAD_LU ; 16-byte Folded Reload
	v_mul_f64_e32 v[6:7], s[4:5], v[0:1]
	ds_load_b128 v[0:3], v196 offset:16464
	global_store_b128 v[8:9], v[4:7], off
	v_add_co_u32 v8, vcc_lo, v8, s6
	s_wait_alu 0xfffd
	v_add_co_ci_u32_e32 v9, vcc_lo, s7, v9, vcc_lo
	s_wait_loadcnt_dscnt 0x0
	;; [unrolled: 15-line block ×5, first 2 shown]
	v_mul_f64_e32 v[4:5], v[12:13], v[2:3]
	s_delay_alu instid0(VALU_DEP_1) | instskip(SKIP_1) | instid1(VALU_DEP_2)
	v_fma_f64 v[4:5], v[10:11], v[0:1], v[4:5]
	v_mul_f64_e32 v[0:1], v[12:13], v[0:1]
	v_mul_f64_e32 v[4:5], s[4:5], v[4:5]
	s_delay_alu instid0(VALU_DEP_2)
	v_fma_f64 v[0:1], v[10:11], v[2:3], -v[0:1]
	scratch_load_b128 v[10:13], off, off offset:140 th:TH_LOAD_LU ; 16-byte Folded Reload
	v_mul_f64_e32 v[6:7], s[4:5], v[0:1]
	ds_load_b128 v[0:3], v196 offset:784
	global_store_b128 v[8:9], v[4:7], off
	s_wait_alu 0xfffe
	v_add_co_u32 v8, vcc_lo, v8, s0
	s_wait_alu 0xfffd
	v_add_co_ci_u32_e32 v9, vcc_lo, s1, v9, vcc_lo
	s_wait_loadcnt_dscnt 0x0
	v_mul_f64_e32 v[4:5], v[12:13], v[2:3]
	s_delay_alu instid0(VALU_DEP_1) | instskip(SKIP_1) | instid1(VALU_DEP_2)
	v_fma_f64 v[4:5], v[10:11], v[0:1], v[4:5]
	v_mul_f64_e32 v[0:1], v[12:13], v[0:1]
	v_mul_f64_e32 v[4:5], s[4:5], v[4:5]
	s_delay_alu instid0(VALU_DEP_2)
	v_fma_f64 v[0:1], v[10:11], v[2:3], -v[0:1]
	scratch_load_b128 v[10:13], off, off offset:156 th:TH_LOAD_LU ; 16-byte Folded Reload
	v_mul_f64_e32 v[6:7], s[4:5], v[0:1]
	ds_load_b128 v[0:3], v196 offset:6272
	global_store_b128 v[8:9], v[4:7], off
	v_add_co_u32 v8, vcc_lo, v8, s6
	s_wait_alu 0xfffd
	v_add_co_ci_u32_e32 v9, vcc_lo, s7, v9, vcc_lo
	s_wait_loadcnt_dscnt 0x0
	v_mul_f64_e32 v[4:5], v[12:13], v[2:3]
	s_delay_alu instid0(VALU_DEP_1) | instskip(SKIP_1) | instid1(VALU_DEP_2)
	v_fma_f64 v[4:5], v[10:11], v[0:1], v[4:5]
	v_mul_f64_e32 v[0:1], v[12:13], v[0:1]
	v_mul_f64_e32 v[4:5], s[4:5], v[4:5]
	s_delay_alu instid0(VALU_DEP_2)
	v_fma_f64 v[0:1], v[10:11], v[2:3], -v[0:1]
	scratch_load_b128 v[10:13], off, off offset:172 th:TH_LOAD_LU ; 16-byte Folded Reload
	v_mul_f64_e32 v[6:7], s[4:5], v[0:1]
	ds_load_b128 v[0:3], v196 offset:11760
	global_store_b128 v[8:9], v[4:7], off
	;; [unrolled: 15-line block ×39, first 2 shown]
	s_wait_loadcnt_dscnt 0x0
	v_mul_f64_e32 v[4:5], v[12:13], v[2:3]
	s_delay_alu instid0(VALU_DEP_1)
	v_fma_f64 v[4:5], v[10:11], v[0:1], v[4:5]
	v_mul_f64_e32 v[0:1], v[12:13], v[0:1]
	scratch_load_b128 v[12:15], off, off offset:780 th:TH_LOAD_LU ; 16-byte Folded Reload
	v_mul_f64_e32 v[4:5], s[4:5], v[4:5]
	v_fma_f64 v[0:1], v[10:11], v[2:3], -v[0:1]
	v_add_co_u32 v10, vcc_lo, v8, s6
	s_wait_alu 0xfffd
	v_add_co_ci_u32_e32 v11, vcc_lo, s7, v9, vcc_lo
	s_delay_alu instid0(VALU_DEP_3) | instskip(SKIP_4) | instid1(VALU_DEP_1)
	v_mul_f64_e32 v[6:7], s[4:5], v[0:1]
	ds_load_b128 v[0:3], v196 offset:32144
	global_store_b128 v[10:11], v[4:7], off
	s_wait_loadcnt_dscnt 0x0
	v_mul_f64_e32 v[4:5], v[14:15], v[2:3]
	v_fma_f64 v[4:5], v[12:13], v[0:1], v[4:5]
	v_mul_f64_e32 v[0:1], v[14:15], v[0:1]
	s_delay_alu instid0(VALU_DEP_2) | instskip(NEXT) | instid1(VALU_DEP_2)
	v_mul_f64_e32 v[6:7], s[4:5], v[4:5]
	v_fma_f64 v[0:1], v[12:13], v[2:3], -v[0:1]
	v_add_co_u32 v4, vcc_lo, v10, s6
	s_wait_alu 0xfffd
	v_add_co_ci_u32_e32 v5, vcc_lo, s7, v11, vcc_lo
	s_delay_alu instid0(VALU_DEP_3)
	v_mul_f64_e32 v[8:9], s[4:5], v[0:1]
	ds_load_b128 v[0:3], v196 offset:37632
	global_store_b128 v[4:5], v[6:9], off
	scratch_load_b128 v[8:11], off, off offset:4 th:TH_LOAD_LU ; 16-byte Folded Reload
	s_wait_loadcnt_dscnt 0x0
	v_mul_f64_e32 v[6:7], v[10:11], v[2:3]
	s_delay_alu instid0(VALU_DEP_1) | instskip(SKIP_1) | instid1(VALU_DEP_2)
	v_fma_f64 v[6:7], v[8:9], v[0:1], v[6:7]
	v_mul_f64_e32 v[0:1], v[10:11], v[0:1]
	v_mul_f64_e32 v[6:7], s[4:5], v[6:7]
	s_delay_alu instid0(VALU_DEP_2) | instskip(NEXT) | instid1(VALU_DEP_1)
	v_fma_f64 v[0:1], v[8:9], v[2:3], -v[0:1]
	v_mul_f64_e32 v[8:9], s[4:5], v[0:1]
	v_add_co_u32 v0, vcc_lo, v4, s6
	s_wait_alu 0xfffd
	v_add_co_ci_u32_e32 v1, vcc_lo, s7, v5, vcc_lo
	global_store_b128 v[0:1], v[6:9], off
.LBB0_2:
	s_nop 0
	s_sendmsg sendmsg(MSG_DEALLOC_VGPRS)
	s_endpgm
	.section	.rodata,"a",@progbits
	.p2align	6, 0x0
	.amdhsa_kernel bluestein_single_back_len2401_dim1_dp_op_CI_CI
		.amdhsa_group_segment_fixed_size 38416
		.amdhsa_private_segment_fixed_size 2892
		.amdhsa_kernarg_size 104
		.amdhsa_user_sgpr_count 2
		.amdhsa_user_sgpr_dispatch_ptr 0
		.amdhsa_user_sgpr_queue_ptr 0
		.amdhsa_user_sgpr_kernarg_segment_ptr 1
		.amdhsa_user_sgpr_dispatch_id 0
		.amdhsa_user_sgpr_private_segment_size 0
		.amdhsa_wavefront_size32 1
		.amdhsa_uses_dynamic_stack 0
		.amdhsa_enable_private_segment 1
		.amdhsa_system_sgpr_workgroup_id_x 1
		.amdhsa_system_sgpr_workgroup_id_y 0
		.amdhsa_system_sgpr_workgroup_id_z 0
		.amdhsa_system_sgpr_workgroup_info 0
		.amdhsa_system_vgpr_workitem_id 0
		.amdhsa_next_free_vgpr 256
		.amdhsa_next_free_sgpr 36
		.amdhsa_reserve_vcc 1
		.amdhsa_float_round_mode_32 0
		.amdhsa_float_round_mode_16_64 0
		.amdhsa_float_denorm_mode_32 3
		.amdhsa_float_denorm_mode_16_64 3
		.amdhsa_fp16_overflow 0
		.amdhsa_workgroup_processor_mode 1
		.amdhsa_memory_ordered 1
		.amdhsa_forward_progress 0
		.amdhsa_round_robin_scheduling 0
		.amdhsa_exception_fp_ieee_invalid_op 0
		.amdhsa_exception_fp_denorm_src 0
		.amdhsa_exception_fp_ieee_div_zero 0
		.amdhsa_exception_fp_ieee_overflow 0
		.amdhsa_exception_fp_ieee_underflow 0
		.amdhsa_exception_fp_ieee_inexact 0
		.amdhsa_exception_int_div_zero 0
	.end_amdhsa_kernel
	.text
.Lfunc_end0:
	.size	bluestein_single_back_len2401_dim1_dp_op_CI_CI, .Lfunc_end0-bluestein_single_back_len2401_dim1_dp_op_CI_CI
                                        ; -- End function
	.section	.AMDGPU.csdata,"",@progbits
; Kernel info:
; codeLenInByte = 64248
; NumSgprs: 38
; NumVgprs: 256
; ScratchSize: 2892
; MemoryBound: 0
; FloatMode: 240
; IeeeMode: 1
; LDSByteSize: 38416 bytes/workgroup (compile time only)
; SGPRBlocks: 4
; VGPRBlocks: 31
; NumSGPRsForWavesPerEU: 38
; NumVGPRsForWavesPerEU: 256
; Occupancy: 2
; WaveLimiterHint : 1
; COMPUTE_PGM_RSRC2:SCRATCH_EN: 1
; COMPUTE_PGM_RSRC2:USER_SGPR: 2
; COMPUTE_PGM_RSRC2:TRAP_HANDLER: 0
; COMPUTE_PGM_RSRC2:TGID_X_EN: 1
; COMPUTE_PGM_RSRC2:TGID_Y_EN: 0
; COMPUTE_PGM_RSRC2:TGID_Z_EN: 0
; COMPUTE_PGM_RSRC2:TIDIG_COMP_CNT: 0
	.text
	.p2alignl 7, 3214868480
	.fill 96, 4, 3214868480
	.type	__hip_cuid_de02c67009b17c80,@object ; @__hip_cuid_de02c67009b17c80
	.section	.bss,"aw",@nobits
	.globl	__hip_cuid_de02c67009b17c80
__hip_cuid_de02c67009b17c80:
	.byte	0                               ; 0x0
	.size	__hip_cuid_de02c67009b17c80, 1

	.ident	"AMD clang version 19.0.0git (https://github.com/RadeonOpenCompute/llvm-project roc-6.4.0 25133 c7fe45cf4b819c5991fe208aaa96edf142730f1d)"
	.section	".note.GNU-stack","",@progbits
	.addrsig
	.addrsig_sym __hip_cuid_de02c67009b17c80
	.amdgpu_metadata
---
amdhsa.kernels:
  - .args:
      - .actual_access:  read_only
        .address_space:  global
        .offset:         0
        .size:           8
        .value_kind:     global_buffer
      - .actual_access:  read_only
        .address_space:  global
        .offset:         8
        .size:           8
        .value_kind:     global_buffer
      - .actual_access:  read_only
        .address_space:  global
        .offset:         16
        .size:           8
        .value_kind:     global_buffer
      - .actual_access:  read_only
        .address_space:  global
        .offset:         24
        .size:           8
        .value_kind:     global_buffer
      - .actual_access:  read_only
        .address_space:  global
        .offset:         32
        .size:           8
        .value_kind:     global_buffer
      - .offset:         40
        .size:           8
        .value_kind:     by_value
      - .address_space:  global
        .offset:         48
        .size:           8
        .value_kind:     global_buffer
      - .address_space:  global
        .offset:         56
        .size:           8
        .value_kind:     global_buffer
      - .address_space:  global
        .offset:         64
        .size:           8
        .value_kind:     global_buffer
      - .address_space:  global
        .offset:         72
        .size:           8
        .value_kind:     global_buffer
      - .offset:         80
        .size:           4
        .value_kind:     by_value
      - .address_space:  global
        .offset:         88
        .size:           8
        .value_kind:     global_buffer
      - .address_space:  global
        .offset:         96
        .size:           8
        .value_kind:     global_buffer
    .group_segment_fixed_size: 38416
    .kernarg_segment_align: 8
    .kernarg_segment_size: 104
    .language:       OpenCL C
    .language_version:
      - 2
      - 0
    .max_flat_workgroup_size: 49
    .name:           bluestein_single_back_len2401_dim1_dp_op_CI_CI
    .private_segment_fixed_size: 2892
    .sgpr_count:     38
    .sgpr_spill_count: 0
    .symbol:         bluestein_single_back_len2401_dim1_dp_op_CI_CI.kd
    .uniform_work_group_size: 1
    .uses_dynamic_stack: false
    .vgpr_count:     256
    .vgpr_spill_count: 815
    .wavefront_size: 32
    .workgroup_processor_mode: 1
amdhsa.target:   amdgcn-amd-amdhsa--gfx1201
amdhsa.version:
  - 1
  - 2
...

	.end_amdgpu_metadata
